;; amdgpu-corpus repo=ROCm/rocFFT kind=compiled arch=gfx1030 opt=O3
	.text
	.amdgcn_target "amdgcn-amd-amdhsa--gfx1030"
	.amdhsa_code_object_version 6
	.protected	fft_rtc_fwd_len3125_factors_5_5_5_5_5_wgs_125_tpt_125_halfLds_sp_ip_CI_unitstride_sbrr_dirReg ; -- Begin function fft_rtc_fwd_len3125_factors_5_5_5_5_5_wgs_125_tpt_125_halfLds_sp_ip_CI_unitstride_sbrr_dirReg
	.globl	fft_rtc_fwd_len3125_factors_5_5_5_5_5_wgs_125_tpt_125_halfLds_sp_ip_CI_unitstride_sbrr_dirReg
	.p2align	8
	.type	fft_rtc_fwd_len3125_factors_5_5_5_5_5_wgs_125_tpt_125_halfLds_sp_ip_CI_unitstride_sbrr_dirReg,@function
fft_rtc_fwd_len3125_factors_5_5_5_5_5_wgs_125_tpt_125_halfLds_sp_ip_CI_unitstride_sbrr_dirReg: ; @fft_rtc_fwd_len3125_factors_5_5_5_5_5_wgs_125_tpt_125_halfLds_sp_ip_CI_unitstride_sbrr_dirReg
; %bb.0:
	s_clause 0x2
	s_load_dwordx4 s[8:11], s[4:5], 0x0
	s_load_dwordx2 s[2:3], s[4:5], 0x50
	s_load_dwordx2 s[12:13], s[4:5], 0x18
	v_mul_u32_u24_e32 v1, 0x20d, v0
	v_mov_b32_e32 v3, 0
	v_add_nc_u32_sdwa v5, s6, v1 dst_sel:DWORD dst_unused:UNUSED_PAD src0_sel:DWORD src1_sel:WORD_1
	v_mov_b32_e32 v1, 0
	v_mov_b32_e32 v6, v3
	v_mov_b32_e32 v2, 0
	s_waitcnt lgkmcnt(0)
	v_cmp_lt_u64_e64 s0, s[10:11], 2
	s_and_b32 vcc_lo, exec_lo, s0
	s_cbranch_vccnz .LBB0_8
; %bb.1:
	s_load_dwordx2 s[0:1], s[4:5], 0x10
	v_mov_b32_e32 v1, 0
	s_add_u32 s6, s12, 8
	v_mov_b32_e32 v2, 0
	s_addc_u32 s7, s13, 0
	s_mov_b64 s[16:17], 1
	s_waitcnt lgkmcnt(0)
	s_add_u32 s14, s0, 8
	s_addc_u32 s15, s1, 0
.LBB0_2:                                ; =>This Inner Loop Header: Depth=1
	s_load_dwordx2 s[18:19], s[14:15], 0x0
                                        ; implicit-def: $vgpr7_vgpr8
	s_mov_b32 s0, exec_lo
	s_waitcnt lgkmcnt(0)
	v_or_b32_e32 v4, s19, v6
	v_cmpx_ne_u64_e32 0, v[3:4]
	s_xor_b32 s1, exec_lo, s0
	s_cbranch_execz .LBB0_4
; %bb.3:                                ;   in Loop: Header=BB0_2 Depth=1
	v_cvt_f32_u32_e32 v4, s18
	v_cvt_f32_u32_e32 v7, s19
	s_sub_u32 s0, 0, s18
	s_subb_u32 s20, 0, s19
	v_fmac_f32_e32 v4, 0x4f800000, v7
	v_rcp_f32_e32 v4, v4
	v_mul_f32_e32 v4, 0x5f7ffffc, v4
	v_mul_f32_e32 v7, 0x2f800000, v4
	v_trunc_f32_e32 v7, v7
	v_fmac_f32_e32 v4, 0xcf800000, v7
	v_cvt_u32_f32_e32 v7, v7
	v_cvt_u32_f32_e32 v4, v4
	v_mul_lo_u32 v8, s0, v7
	v_mul_hi_u32 v9, s0, v4
	v_mul_lo_u32 v10, s20, v4
	v_add_nc_u32_e32 v8, v9, v8
	v_mul_lo_u32 v9, s0, v4
	v_add_nc_u32_e32 v8, v8, v10
	v_mul_hi_u32 v10, v4, v9
	v_mul_lo_u32 v11, v4, v8
	v_mul_hi_u32 v12, v4, v8
	v_mul_hi_u32 v13, v7, v9
	v_mul_lo_u32 v9, v7, v9
	v_mul_hi_u32 v14, v7, v8
	v_mul_lo_u32 v8, v7, v8
	v_add_co_u32 v10, vcc_lo, v10, v11
	v_add_co_ci_u32_e32 v11, vcc_lo, 0, v12, vcc_lo
	v_add_co_u32 v9, vcc_lo, v10, v9
	v_add_co_ci_u32_e32 v9, vcc_lo, v11, v13, vcc_lo
	v_add_co_ci_u32_e32 v10, vcc_lo, 0, v14, vcc_lo
	v_add_co_u32 v8, vcc_lo, v9, v8
	v_add_co_ci_u32_e32 v9, vcc_lo, 0, v10, vcc_lo
	v_add_co_u32 v4, vcc_lo, v4, v8
	v_add_co_ci_u32_e32 v7, vcc_lo, v7, v9, vcc_lo
	v_mul_hi_u32 v8, s0, v4
	v_mul_lo_u32 v10, s20, v4
	v_mul_lo_u32 v9, s0, v7
	v_add_nc_u32_e32 v8, v8, v9
	v_mul_lo_u32 v9, s0, v4
	v_add_nc_u32_e32 v8, v8, v10
	v_mul_hi_u32 v10, v4, v9
	v_mul_lo_u32 v11, v4, v8
	v_mul_hi_u32 v12, v4, v8
	v_mul_hi_u32 v13, v7, v9
	v_mul_lo_u32 v9, v7, v9
	v_mul_hi_u32 v14, v7, v8
	v_mul_lo_u32 v8, v7, v8
	v_add_co_u32 v10, vcc_lo, v10, v11
	v_add_co_ci_u32_e32 v11, vcc_lo, 0, v12, vcc_lo
	v_add_co_u32 v9, vcc_lo, v10, v9
	v_add_co_ci_u32_e32 v9, vcc_lo, v11, v13, vcc_lo
	v_add_co_ci_u32_e32 v10, vcc_lo, 0, v14, vcc_lo
	v_add_co_u32 v8, vcc_lo, v9, v8
	v_add_co_ci_u32_e32 v9, vcc_lo, 0, v10, vcc_lo
	v_add_co_u32 v4, vcc_lo, v4, v8
	v_add_co_ci_u32_e32 v11, vcc_lo, v7, v9, vcc_lo
	v_mul_hi_u32 v13, v5, v4
	v_mad_u64_u32 v[9:10], null, v6, v4, 0
	v_mad_u64_u32 v[7:8], null, v5, v11, 0
	;; [unrolled: 1-line block ×3, first 2 shown]
	v_add_co_u32 v4, vcc_lo, v13, v7
	v_add_co_ci_u32_e32 v7, vcc_lo, 0, v8, vcc_lo
	v_add_co_u32 v4, vcc_lo, v4, v9
	v_add_co_ci_u32_e32 v4, vcc_lo, v7, v10, vcc_lo
	v_add_co_ci_u32_e32 v7, vcc_lo, 0, v12, vcc_lo
	v_add_co_u32 v4, vcc_lo, v4, v11
	v_add_co_ci_u32_e32 v9, vcc_lo, 0, v7, vcc_lo
	v_mul_lo_u32 v10, s19, v4
	v_mad_u64_u32 v[7:8], null, s18, v4, 0
	v_mul_lo_u32 v11, s18, v9
	v_sub_co_u32 v7, vcc_lo, v5, v7
	v_add3_u32 v8, v8, v11, v10
	v_sub_nc_u32_e32 v10, v6, v8
	v_subrev_co_ci_u32_e64 v10, s0, s19, v10, vcc_lo
	v_add_co_u32 v11, s0, v4, 2
	v_add_co_ci_u32_e64 v12, s0, 0, v9, s0
	v_sub_co_u32 v13, s0, v7, s18
	v_sub_co_ci_u32_e32 v8, vcc_lo, v6, v8, vcc_lo
	v_subrev_co_ci_u32_e64 v10, s0, 0, v10, s0
	v_cmp_le_u32_e32 vcc_lo, s18, v13
	v_cmp_eq_u32_e64 s0, s19, v8
	v_cndmask_b32_e64 v13, 0, -1, vcc_lo
	v_cmp_le_u32_e32 vcc_lo, s19, v10
	v_cndmask_b32_e64 v14, 0, -1, vcc_lo
	v_cmp_le_u32_e32 vcc_lo, s18, v7
	;; [unrolled: 2-line block ×3, first 2 shown]
	v_cndmask_b32_e64 v15, 0, -1, vcc_lo
	v_cmp_eq_u32_e32 vcc_lo, s19, v10
	v_cndmask_b32_e64 v7, v15, v7, s0
	v_cndmask_b32_e32 v10, v14, v13, vcc_lo
	v_add_co_u32 v13, vcc_lo, v4, 1
	v_add_co_ci_u32_e32 v14, vcc_lo, 0, v9, vcc_lo
	v_cmp_ne_u32_e32 vcc_lo, 0, v10
	v_cndmask_b32_e32 v8, v14, v12, vcc_lo
	v_cndmask_b32_e32 v10, v13, v11, vcc_lo
	v_cmp_ne_u32_e32 vcc_lo, 0, v7
	v_cndmask_b32_e32 v8, v9, v8, vcc_lo
	v_cndmask_b32_e32 v7, v4, v10, vcc_lo
.LBB0_4:                                ;   in Loop: Header=BB0_2 Depth=1
	s_andn2_saveexec_b32 s0, s1
	s_cbranch_execz .LBB0_6
; %bb.5:                                ;   in Loop: Header=BB0_2 Depth=1
	v_cvt_f32_u32_e32 v4, s18
	s_sub_i32 s1, 0, s18
	v_rcp_iflag_f32_e32 v4, v4
	v_mul_f32_e32 v4, 0x4f7ffffe, v4
	v_cvt_u32_f32_e32 v4, v4
	v_mul_lo_u32 v7, s1, v4
	v_mul_hi_u32 v7, v4, v7
	v_add_nc_u32_e32 v4, v4, v7
	v_mul_hi_u32 v4, v5, v4
	v_mul_lo_u32 v7, v4, s18
	v_add_nc_u32_e32 v8, 1, v4
	v_sub_nc_u32_e32 v7, v5, v7
	v_subrev_nc_u32_e32 v9, s18, v7
	v_cmp_le_u32_e32 vcc_lo, s18, v7
	v_cndmask_b32_e32 v7, v7, v9, vcc_lo
	v_cndmask_b32_e32 v4, v4, v8, vcc_lo
	v_cmp_le_u32_e32 vcc_lo, s18, v7
	v_add_nc_u32_e32 v8, 1, v4
	v_cndmask_b32_e32 v7, v4, v8, vcc_lo
	v_mov_b32_e32 v8, v3
.LBB0_6:                                ;   in Loop: Header=BB0_2 Depth=1
	s_or_b32 exec_lo, exec_lo, s0
	s_load_dwordx2 s[0:1], s[6:7], 0x0
	v_mul_lo_u32 v4, v8, s18
	v_mul_lo_u32 v11, v7, s19
	v_mad_u64_u32 v[9:10], null, v7, s18, 0
	s_add_u32 s16, s16, 1
	s_addc_u32 s17, s17, 0
	s_add_u32 s6, s6, 8
	s_addc_u32 s7, s7, 0
	;; [unrolled: 2-line block ×3, first 2 shown]
	v_add3_u32 v4, v10, v11, v4
	v_sub_co_u32 v5, vcc_lo, v5, v9
	v_sub_co_ci_u32_e32 v4, vcc_lo, v6, v4, vcc_lo
	s_waitcnt lgkmcnt(0)
	v_mul_lo_u32 v6, s1, v5
	v_mul_lo_u32 v4, s0, v4
	v_mad_u64_u32 v[1:2], null, s0, v5, v[1:2]
	v_cmp_ge_u64_e64 s0, s[16:17], s[10:11]
	s_and_b32 vcc_lo, exec_lo, s0
	v_add3_u32 v2, v6, v2, v4
	s_cbranch_vccnz .LBB0_9
; %bb.7:                                ;   in Loop: Header=BB0_2 Depth=1
	v_mov_b32_e32 v5, v7
	v_mov_b32_e32 v6, v8
	s_branch .LBB0_2
.LBB0_8:
	v_mov_b32_e32 v8, v6
	v_mov_b32_e32 v7, v5
.LBB0_9:
	s_lshl_b64 s[0:1], s[10:11], 3
	v_mul_hi_u32 v5, 0x20c49bb, v0
	s_add_u32 s0, s12, s0
	s_addc_u32 s1, s13, s1
                                        ; implicit-def: $vgpr18
                                        ; implicit-def: $vgpr20
                                        ; implicit-def: $vgpr26
                                        ; implicit-def: $vgpr22
                                        ; implicit-def: $vgpr28
                                        ; implicit-def: $vgpr24
                                        ; implicit-def: $vgpr48
                                        ; implicit-def: $vgpr38
                                        ; implicit-def: $vgpr32
                                        ; implicit-def: $vgpr52
                                        ; implicit-def: $vgpr46
                                        ; implicit-def: $vgpr40
                                        ; implicit-def: $vgpr50
                                        ; implicit-def: $vgpr42
                                        ; implicit-def: $vgpr44
                                        ; implicit-def: $vgpr36
                                        ; implicit-def: $vgpr34
                                        ; implicit-def: $vgpr54
                                        ; implicit-def: $vgpr56
                                        ; implicit-def: $vgpr14
                                        ; implicit-def: $vgpr58
                                        ; implicit-def: $vgpr30
                                        ; implicit-def: $vgpr16
	s_load_dwordx2 s[0:1], s[0:1], 0x0
	s_load_dwordx2 s[4:5], s[4:5], 0x20
	s_waitcnt lgkmcnt(0)
	v_mul_lo_u32 v3, s0, v8
	v_mul_lo_u32 v4, s1, v7
	v_mad_u64_u32 v[1:2], null, s0, v7, v[1:2]
	v_cmp_gt_u64_e32 vcc_lo, s[4:5], v[7:8]
	v_add3_u32 v2, v4, v2, v3
	v_mul_u32_u24_e32 v3, 0x7d, v5
	v_lshlrev_b64 v[8:9], 3, v[1:2]
	v_sub_nc_u32_e32 v10, v0, v3
                                        ; implicit-def: $vgpr3
                                        ; implicit-def: $vgpr1
	s_and_saveexec_b32 s1, vcc_lo
	s_cbranch_execz .LBB0_11
; %bb.10:
	v_mov_b32_e32 v11, 0
	v_add_co_u32 v2, s0, s2, v8
	v_add_co_ci_u32_e64 v3, s0, s3, v9, s0
	v_lshlrev_b64 v[0:1], 3, v[10:11]
	v_add_co_u32 v0, s0, v2, v0
	v_add_co_ci_u32_e64 v1, s0, v3, v1, s0
	v_add_co_u32 v2, s0, 0x1000, v0
	v_add_co_ci_u32_e64 v3, s0, 0, v1, s0
	;; [unrolled: 2-line block ×8, first 2 shown]
	s_clause 0xb
	global_load_dwordx2 v[13:14], v[4:5], off offset:664
	global_load_dwordx2 v[15:16], v[0:1], off
	global_load_dwordx2 v[53:54], v[0:1], off offset:1000
	global_load_dwordx2 v[33:34], v[2:3], off offset:1904
	;; [unrolled: 1-line block ×10, first 2 shown]
	v_add_co_u32 v2, s0, 0x4000, v0
	v_add_co_ci_u32_e64 v3, s0, 0, v1, s0
	v_add_co_u32 v4, s0, 0x800, v0
	v_add_co_ci_u32_e64 v5, s0, 0, v1, s0
	;; [unrolled: 2-line block ×4, first 2 shown]
	s_clause 0xc
	global_load_dwordx2 v[0:1], v[4:5], off offset:952
	global_load_dwordx2 v[23:24], v[2:3], off offset:1616
	;; [unrolled: 1-line block ×13, first 2 shown]
.LBB0_11:
	s_or_b32 exec_lo, exec_lo, s1
	s_waitcnt vmcnt(4)
	v_add_f32_e32 v4, v13, v57
	v_sub_f32_e32 v11, v29, v57
	s_waitcnt vmcnt(2)
	v_sub_f32_e32 v12, v55, v13
	v_add_f32_e32 v59, v43, v35
	v_add_f32_e32 v7, v29, v15
	v_sub_f32_e32 v5, v30, v56
	v_fma_f32 v4, -0.5, v4, v15
	v_add_f32_e32 v61, v33, v53
	v_add_f32_e32 v11, v12, v11
	v_fma_f32 v12, -0.5, v59, v53
	v_sub_f32_e32 v59, v34, v42
	v_sub_f32_e32 v6, v58, v14
	v_add_f32_e32 v7, v57, v7
	v_fmamk_f32 v60, v5, 0x3f737871, v4
	v_sub_f32_e32 v62, v33, v35
	v_sub_f32_e32 v63, v41, v43
	v_add_f32_e32 v61, v35, v61
	v_fmamk_f32 v64, v59, 0x3f737871, v12
	v_sub_f32_e32 v65, v36, v44
	v_add_f32_e32 v7, v13, v7
	v_fmac_f32_e32 v60, 0x3f167918, v6
	v_add_f32_e32 v62, v63, v62
	v_add_f32_e32 v63, v39, v49
	v_mad_u32_u24 v85, v10, 20, 0
	v_add_f32_e32 v61, v43, v61
	v_fmac_f32_e32 v64, 0x3f167918, v65
	v_add_f32_e32 v7, v55, v7
	v_fmac_f32_e32 v60, 0x3e9e377a, v11
	v_add_f32_e32 v63, v45, v63
	v_add_f32_e32 v61, v41, v61
	v_fmac_f32_e32 v64, 0x3e9e377a, v62
	v_add_nc_u32_e32 v88, 0x9c4, v85
	v_add_f32_e32 v66, v51, v45
	v_sub_f32_e32 v68, v39, v45
	v_sub_f32_e32 v69, v31, v51
	v_add_f32_e32 v63, v51, v63
	ds_write2_b32 v85, v7, v60 offset1:1
	ds_write2_b32 v88, v61, v64 offset1:1
	v_add_f32_e32 v60, v23, v47
	s_waitcnt vmcnt(1)
	v_add_f32_e32 v72, v19, v25
	v_fma_f32 v66, -0.5, v66, v49
	v_sub_f32_e32 v67, v40, v32
	v_add_f32_e32 v68, v69, v68
	v_add_f32_e32 v7, v31, v63
	v_sub_f32_e32 v61, v37, v47
	v_sub_f32_e32 v63, v27, v23
	v_add_f32_e32 v64, v37, v0
	v_fma_f32 v60, -0.5, v60, v0
	v_sub_f32_e32 v69, v38, v28
	v_add_f32_e32 v73, v21, v2
	v_fma_f32 v72, -0.5, v72, v2
	s_waitcnt vmcnt(0)
	v_sub_f32_e32 v74, v22, v18
	v_fmamk_f32 v70, v67, 0x3f737871, v66
	v_sub_f32_e32 v71, v46, v52
	v_add_f32_e32 v61, v63, v61
	v_add_f32_e32 v63, v47, v64
	v_fmamk_f32 v64, v69, 0x3f737871, v60
	v_sub_f32_e32 v75, v48, v24
	v_sub_f32_e32 v76, v21, v25
	v_sub_f32_e32 v77, v17, v19
	v_add_f32_e32 v73, v25, v73
	v_fmamk_f32 v78, v74, 0x3f737871, v72
	v_sub_f32_e32 v79, v26, v20
	v_fmac_f32_e32 v70, 0x3f167918, v71
	v_add_f32_e32 v63, v23, v63
	v_fmac_f32_e32 v64, 0x3f167918, v75
	v_add_f32_e32 v76, v77, v76
	v_add_f32_e32 v73, v19, v73
	v_fmac_f32_e32 v78, 0x3f167918, v79
	v_fmac_f32_e32 v70, 0x3e9e377a, v68
	v_add_nc_u32_e32 v89, 0x1388, v85
	v_add_f32_e32 v63, v27, v63
	v_fmac_f32_e32 v64, 0x3e9e377a, v61
	v_add_nc_u32_e32 v87, 0x1d4c, v85
	v_add_f32_e32 v73, v17, v73
	;; [unrolled: 3-line block ×3, first 2 shown]
	v_fmac_f32_e32 v4, 0xbf737871, v5
	ds_write2_b32 v89, v7, v70 offset1:1
	ds_write2_b32 v87, v63, v64 offset1:1
	;; [unrolled: 1-line block ×3, first 2 shown]
	v_add_f32_e32 v64, v41, v33
	v_sub_f32_e32 v7, v57, v29
	v_fmac_f32_e32 v15, -0.5, v77
	v_fmac_f32_e32 v4, 0xbf167918, v6
	v_sub_f32_e32 v63, v13, v55
	v_fmac_f32_e32 v53, -0.5, v64
	v_add_f32_e32 v91, v34, v54
	v_fmamk_f32 v70, v6, 0xbf737871, v15
	v_fmac_f32_e32 v4, 0x3e9e377a, v11
	v_fmac_f32_e32 v15, 0x3f737871, v6
	v_add_f32_e32 v6, v63, v7
	v_sub_f32_e32 v7, v35, v33
	v_sub_f32_e32 v11, v43, v41
	v_fmamk_f32 v63, v65, 0xbf737871, v53
	v_fmac_f32_e32 v53, 0x3f737871, v65
	v_fmac_f32_e32 v70, 0x3f167918, v5
	v_fmac_f32_e32 v15, 0xbf167918, v5
	v_add_f32_e32 v5, v11, v7
	v_fmac_f32_e32 v63, 0x3f167918, v59
	v_fmac_f32_e32 v53, 0xbf167918, v59
	v_add_f32_e32 v7, v44, v36
	v_sub_f32_e32 v35, v35, v43
	v_add_f32_e32 v11, v31, v39
	v_fmac_f32_e32 v63, 0x3e9e377a, v5
	v_fmac_f32_e32 v53, 0x3e9e377a, v5
	v_add_f32_e32 v5, v42, v34
	v_fma_f32 v90, -0.5, v7, v54
	v_fmac_f32_e32 v70, 0x3e9e377a, v6
	v_fmac_f32_e32 v15, 0x3e9e377a, v6
	v_sub_f32_e32 v6, v36, v34
	v_fmac_f32_e32 v54, -0.5, v5
	v_sub_f32_e32 v7, v44, v42
	v_sub_f32_e32 v33, v33, v41
	v_fmac_f32_e32 v49, -0.5, v11
	v_fmac_f32_e32 v12, 0xbf737871, v59
	v_fmamk_f32 v92, v35, 0x3f737871, v54
	v_fmac_f32_e32 v54, 0xbf737871, v35
	v_add_f32_e32 v5, v7, v6
	v_sub_f32_e32 v6, v45, v39
	v_sub_f32_e32 v7, v51, v31
	v_fmac_f32_e32 v92, 0xbf167918, v33
	v_fmac_f32_e32 v54, 0x3f167918, v33
	v_fmamk_f32 v11, v71, 0xbf737871, v49
	v_fmac_f32_e32 v49, 0x3f737871, v71
	v_add_f32_e32 v6, v7, v6
	v_fmac_f32_e32 v92, 0x3e9e377a, v5
	v_fmac_f32_e32 v54, 0x3e9e377a, v5
	v_add_f32_e32 v5, v27, v37
	v_fmac_f32_e32 v11, 0x3f167918, v67
	;; [unrolled: 3-line block ×3, first 2 shown]
	v_fmac_f32_e32 v0, -0.5, v5
	v_fmac_f32_e32 v11, 0x3e9e377a, v6
	v_fmac_f32_e32 v49, 0x3e9e377a, v6
	v_sub_f32_e32 v5, v47, v37
	v_sub_f32_e32 v6, v23, v27
	v_fmac_f32_e32 v2, -0.5, v7
	v_fmamk_f32 v41, v75, 0xbf737871, v0
	v_fmac_f32_e32 v0, 0x3f737871, v75
	v_fmac_f32_e32 v12, 0xbf167918, v65
	;; [unrolled: 1-line block ×3, first 2 shown]
	v_add_f32_e32 v5, v6, v5
	v_sub_f32_e32 v6, v25, v21
	v_sub_f32_e32 v7, v19, v17
	v_fmamk_f32 v43, v79, 0xbf737871, v2
	v_fmac_f32_e32 v2, 0x3f737871, v79
	v_fmac_f32_e32 v66, 0xbf167918, v71
	v_fmac_f32_e32 v41, 0x3f167918, v69
	v_fmac_f32_e32 v0, 0xbf167918, v69
	v_add_nc_u32_e32 v93, 0x9cc, v85
	v_fmac_f32_e32 v12, 0x3e9e377a, v62
	v_fmac_f32_e32 v60, 0xbf167918, v75
	v_add_f32_e32 v6, v7, v6
	v_fmac_f32_e32 v43, 0x3f167918, v74
	v_fmac_f32_e32 v2, 0xbf167918, v74
	;; [unrolled: 1-line block ×4, first 2 shown]
	ds_write2_b32 v85, v70, v15 offset0:2 offset1:3
	v_add_nc_u32_e32 v94, 0x1390, v85
	ds_write_b32 v85, v4 offset:16
	ds_write2_b32 v93, v63, v53 offset1:1
	ds_write_b32 v85, v12 offset:2516
	v_lshlrev_b32_e32 v4, 4, v10
	v_fmac_f32_e32 v41, 0x3e9e377a, v5
	v_fmac_f32_e32 v0, 0x3e9e377a, v5
	v_add_nc_u32_e32 v95, 0x1d54, v85
	v_fmac_f32_e32 v60, 0x3e9e377a, v61
	v_fmac_f32_e32 v43, 0x3e9e377a, v6
	;; [unrolled: 1-line block ×3, first 2 shown]
	v_add_nc_u32_e32 v96, 0x2718, v85
	v_fmac_f32_e32 v72, 0xbf167918, v79
	ds_write2_b32 v94, v11, v49 offset1:1
	ds_write_b32 v85, v66 offset:5016
	ds_write2_b32 v95, v41, v0 offset1:1
	ds_write_b32 v85, v60 offset:7516
	ds_write2_b32 v96, v43, v2 offset1:1
	v_sub_nc_u32_e32 v41, v85, v4
	v_add_f32_e32 v0, v52, v46
	v_add_f32_e32 v2, v32, v40
	v_fmac_f32_e32 v72, 0x3e9e377a, v76
	v_add_f32_e32 v97, v40, v50
	v_add_nc_u32_e32 v84, 0x2200, v41
	v_fma_f32 v0, -0.5, v0, v50
	v_fmac_f32_e32 v50, -0.5, v2
	v_sub_f32_e32 v2, v45, v51
	v_add_nc_u32_e32 v49, 0x600, v41
	v_add_nc_u32_e32 v77, 0x1200, v41
	;; [unrolled: 1-line block ×3, first 2 shown]
	ds_write_b32 v85, v72 offset:10016
	s_waitcnt lgkmcnt(0)
	s_barrier
	buffer_gl0_inv
	v_add_nc_u32_e32 v80, 0x2600, v41
	v_add_nc_u32_e32 v43, 0xa00, v41
	v_add_nc_u32_e32 v53, 0x1e00, v41
	v_add_nc_u32_e32 v79, 0x200, v41
	v_add_nc_u32_e32 v81, 0x1600, v41
	v_add_nc_u32_e32 v82, 0x2a00, v41
	v_add_nc_u32_e32 v83, 0xe00, v41
	ds_read_b32 v15, v41 offset:12000
	ds_read2_b32 v[11:12], v41 offset1:125
	ds_read2_b32 v[4:5], v49 offset0:116 offset1:241
	ds_read2_b32 v[59:60], v77 offset0:98 offset1:223
	;; [unrolled: 1-line block ×11, first 2 shown]
	s_waitcnt lgkmcnt(0)
	s_barrier
	buffer_gl0_inv
	ds_write2_b32 v93, v92, v54 offset1:1
	v_sub_f32_e32 v45, v46, v40
	v_sub_f32_e32 v51, v52, v32
	v_fmamk_f32 v54, v2, 0x3f737871, v50
	v_sub_f32_e32 v31, v39, v31
	v_fmac_f32_e32 v50, 0xbf737871, v2
	v_sub_f32_e32 v13, v57, v13
	v_add_f32_e32 v39, v51, v45
	v_add_f32_e32 v45, v14, v58
	v_fmac_f32_e32 v54, 0xbf167918, v31
	v_fmac_f32_e32 v50, 0x3f167918, v31
	v_add_f32_e32 v51, v56, v30
	v_sub_f32_e32 v29, v29, v55
	v_sub_f32_e32 v34, v34, v36
	v_fmac_f32_e32 v54, 0x3e9e377a, v39
	v_fmac_f32_e32 v50, 0x3e9e377a, v39
	v_fma_f32 v39, -0.5, v45, v16
	v_add_f32_e32 v45, v30, v16
	v_fmac_f32_e32 v16, -0.5, v51
	v_sub_f32_e32 v51, v14, v56
	ds_write2_b32 v94, v54, v50 offset1:1
	v_sub_f32_e32 v50, v58, v30
	v_sub_f32_e32 v40, v40, v46
	v_fmamk_f32 v54, v13, 0x3f737871, v16
	v_fmac_f32_e32 v16, 0xbf737871, v13
	v_add_f32_e32 v46, v46, v97
	v_add_f32_e32 v50, v51, v50
	;; [unrolled: 1-line block ×3, first 2 shown]
	v_fmac_f32_e32 v54, 0xbf167918, v29
	v_fmac_f32_e32 v16, 0x3f167918, v29
	v_fmamk_f32 v55, v31, 0xbf737871, v0
	v_sub_f32_e32 v27, v37, v27
	v_add_f32_e32 v36, v44, v51
	v_fmac_f32_e32 v54, 0x3e9e377a, v50
	v_fmac_f32_e32 v16, 0x3e9e377a, v50
	v_sub_f32_e32 v44, v42, v44
	v_fmamk_f32 v50, v33, 0xbf737871, v90
	v_sub_f32_e32 v51, v32, v52
	v_fmac_f32_e32 v55, 0xbf167918, v2
	v_add_f32_e32 v36, v42, v36
	v_add_f32_e32 v34, v44, v34
	v_fmac_f32_e32 v50, 0xbf167918, v35
	v_add_f32_e32 v44, v52, v46
	v_add_f32_e32 v40, v51, v40
	;; [unrolled: 1-line block ×4, first 2 shown]
	v_fmac_f32_e32 v50, 0x3e9e377a, v34
	v_add_f32_e32 v32, v32, v44
	v_fmac_f32_e32 v55, 0x3e9e377a, v40
	ds_write2_b32 v85, v54, v16 offset0:2 offset1:3
	ds_write2_b32 v88, v36, v50 offset1:1
	v_add_f32_e32 v36, v38, v1
	v_add_f32_e32 v16, v14, v42
	ds_write2_b32 v89, v32, v55 offset1:1
	v_sub_f32_e32 v42, v38, v48
	v_sub_f32_e32 v44, v48, v38
	v_add_f32_e32 v32, v48, v36
	v_add_f32_e32 v36, v24, v48
	;; [unrolled: 1-line block ×3, first 2 shown]
	v_sub_f32_e32 v45, v28, v24
	v_sub_f32_e32 v30, v30, v58
	v_add_f32_e32 v32, v24, v32
	v_sub_f32_e32 v24, v24, v28
	v_sub_f32_e32 v14, v56, v14
	v_sub_f32_e32 v19, v25, v19
	v_sub_f32_e32 v25, v22, v26
	v_add_f32_e32 v28, v28, v32
	v_add_f32_e32 v32, v26, v37
	;; [unrolled: 1-line block ×3, first 2 shown]
	v_sub_f32_e32 v26, v26, v22
	v_fmamk_f32 v46, v29, 0xbf737871, v39
	v_sub_f32_e32 v17, v21, v17
	v_add_f32_e32 v21, v18, v22
	v_add_f32_e32 v22, v20, v32
	;; [unrolled: 1-line block ×3, first 2 shown]
	v_fmac_f32_e32 v46, 0xbf167918, v13
	v_sub_f32_e32 v30, v18, v20
	v_sub_f32_e32 v20, v20, v18
	v_add_f32_e32 v18, v18, v22
	v_fmac_f32_e32 v0, 0x3f737871, v31
	v_fma_f32 v22, -0.5, v36, v1
	v_add_f32_e32 v16, v56, v16
	v_sub_f32_e32 v23, v47, v23
	v_fmac_f32_e32 v39, 0x3f737871, v29
	v_fmac_f32_e32 v46, 0x3e9e377a, v14
	;; [unrolled: 1-line block ×3, first 2 shown]
	v_fmamk_f32 v2, v27, 0xbf737871, v22
	v_fmac_f32_e32 v22, 0x3f737871, v27
	v_fmac_f32_e32 v1, -0.5, v38
	v_fmac_f32_e32 v39, 0x3f167918, v13
	ds_write2_b32 v85, v16, v46 offset1:1
	v_fmac_f32_e32 v2, 0xbf167918, v23
	v_fmac_f32_e32 v22, 0x3f167918, v23
	v_fmamk_f32 v16, v23, 0x3f737871, v1
	v_fmac_f32_e32 v1, 0xbf737871, v23
	v_fma_f32 v23, -0.5, v37, v3
	v_fmac_f32_e32 v90, 0x3f737871, v33
	v_fmac_f32_e32 v39, 0x3e9e377a, v14
	v_add_f32_e32 v13, v45, v42
	v_fmac_f32_e32 v3, -0.5, v21
	v_add_f32_e32 v14, v30, v25
	v_fmamk_f32 v21, v17, 0xbf737871, v23
	v_fmac_f32_e32 v23, 0x3f737871, v17
	v_add_nc_u32_e32 v36, 0x1f4, v10
	v_mov_b32_e32 v25, 0xcccd
	v_fmac_f32_e32 v90, 0x3f167918, v35
	v_fmac_f32_e32 v2, 0x3e9e377a, v13
	;; [unrolled: 1-line block ×3, first 2 shown]
	v_add_f32_e32 v13, v24, v44
	v_fmac_f32_e32 v16, 0xbf167918, v27
	v_fmac_f32_e32 v1, 0x3f167918, v27
	v_fmamk_f32 v24, v19, 0x3f737871, v3
	v_fmac_f32_e32 v3, 0xbf737871, v19
	v_fmac_f32_e32 v21, 0xbf167918, v19
	;; [unrolled: 1-line block ×3, first 2 shown]
	v_add_f32_e32 v19, v20, v26
	v_mul_u32_u24_sdwa v20, v36, v25 dst_sel:DWORD dst_unused:UNUSED_PAD src0_sel:WORD_0 src1_sel:DWORD
	v_fmac_f32_e32 v90, 0x3e9e377a, v34
	v_fmac_f32_e32 v16, 0x3e9e377a, v13
	;; [unrolled: 1-line block ×3, first 2 shown]
	v_add_nc_u32_e32 v37, 0x177, v10
	v_lshrrev_b32_e32 v13, 18, v20
	v_fmac_f32_e32 v0, 0x3e9e377a, v40
	v_fmac_f32_e32 v21, 0x3e9e377a, v14
	;; [unrolled: 1-line block ×3, first 2 shown]
	ds_write_b32 v85, v39 offset:16
	v_mul_lo_u16 v14, v13, 5
	ds_write_b32 v85, v90 offset:2516
	ds_write_b32 v85, v0 offset:5016
	ds_write2_b32 v87, v28, v2 offset1:1
	v_mul_u32_u24_sdwa v0, v37, v25 dst_sel:DWORD dst_unused:UNUSED_PAD src0_sel:WORD_0 src1_sel:DWORD
	v_add_nc_u32_e32 v38, 0xfa, v10
	v_add_nc_u32_e32 v39, 0x7d, v10
	v_fmac_f32_e32 v24, 0xbf167918, v17
	v_fmac_f32_e32 v3, 0x3f167918, v17
	v_mov_b32_e32 v42, 5
	v_sub_nc_u16 v14, v36, v14
	v_lshrrev_b32_e32 v17, 18, v0
	v_mul_u32_u24_sdwa v0, v38, v25 dst_sel:DWORD dst_unused:UNUSED_PAD src0_sel:WORD_0 src1_sel:DWORD
	v_and_b32_e32 v44, 0xff, v39
	v_fmac_f32_e32 v24, 0x3e9e377a, v19
	v_fmac_f32_e32 v3, 0x3e9e377a, v19
	ds_write2_b32 v95, v16, v1 offset1:1
	ds_write_b32 v85, v22 offset:7516
	v_lshlrev_b32_sdwa v1, v42, v14 dst_sel:DWORD dst_unused:UNUSED_PAD src0_sel:DWORD src1_sel:WORD_0
	v_mul_lo_u16 v2, v17, 5
	v_lshrrev_b32_e32 v19, 18, v0
	v_mul_lo_u16 v0, 0xcd, v44
	ds_write2_b32 v86, v18, v21 offset1:1
	ds_write2_b32 v96, v24, v3 offset1:1
	ds_write_b32 v85, v23 offset:10016
	s_waitcnt lgkmcnt(0)
	s_barrier
	buffer_gl0_inv
	v_sub_nc_u16 v18, v37, v2
	global_load_dwordx4 v[28:31], v1, s[8:9] offset:16
	v_mul_lo_u16 v2, v19, 5
	v_lshrrev_b16 v24, 10, v0
	v_and_b32_e32 v45, 0xff, v10
	v_lshlrev_b32_sdwa v3, v42, v18 dst_sel:DWORD dst_unused:UNUSED_PAD src0_sel:DWORD src1_sel:WORD_0
	v_mov_b32_e32 v40, 2
	v_sub_nc_u16 v22, v38, v2
	v_mul_lo_u16 v0, v24, 5
	v_mul_lo_u16 v2, 0xcd, v45
	global_load_dwordx4 v[32:35], v3, s[8:9] offset:16
	v_mul_u32_u24_e32 v19, 0x64, v19
	v_lshlrev_b32_sdwa v16, v42, v22 dst_sel:DWORD dst_unused:UNUSED_PAD src0_sel:DWORD src1_sel:WORD_0
	v_sub_nc_u16 v25, v39, v0
	v_lshrrev_b16 v26, 10, v2
	v_lshlrev_b32_sdwa v22, v40, v22 dst_sel:DWORD dst_unused:UNUSED_PAD src0_sel:DWORD src1_sel:WORD_0
	v_lshlrev_b32_sdwa v14, v40, v14 dst_sel:DWORD dst_unused:UNUSED_PAD src0_sel:DWORD src1_sel:WORD_0
	global_load_dwordx4 v[86:89], v16, s[8:9] offset:16
	v_lshlrev_b32_sdwa v0, v42, v25 dst_sel:DWORD dst_unused:UNUSED_PAD src0_sel:DWORD src1_sel:BYTE_0
	v_mul_lo_u16 v2, v26, 5
	v_mul_u32_u24_e32 v13, 0x64, v13
	global_load_dwordx4 v[90:93], v0, s[8:9] offset:16
	v_sub_nc_u16 v27, v10, v2
	v_lshlrev_b32_sdwa v20, v42, v27 dst_sel:DWORD dst_unused:UNUSED_PAD src0_sel:DWORD src1_sel:BYTE_0
	s_clause 0x5
	global_load_dwordx4 v[94:97], v20, s[8:9] offset:16
	global_load_dwordx4 v[98:101], v1, s[8:9]
	global_load_dwordx4 v[102:105], v3, s[8:9]
	;; [unrolled: 1-line block ×5, first 2 shown]
	ds_read_b32 v16, v41 offset:12000
	ds_read2_b32 v[20:21], v84 offset0:74 offset1:199
	ds_read2_b32 v[50:51], v82 offset0:62 offset1:187
	;; [unrolled: 1-line block ×3, first 2 shown]
	v_lshlrev_b32_sdwa v27, v40, v27 dst_sel:DWORD dst_unused:UNUSED_PAD src0_sel:DWORD src1_sel:BYTE_0
	s_waitcnt vmcnt(9) lgkmcnt(3)
	v_mul_f32_e32 v23, v16, v31
	v_mul_f32_e32 v46, v15, v31
	s_waitcnt lgkmcnt(2)
	v_mul_f32_e32 v31, v21, v29
	v_mul_f32_e32 v47, v76, v29
	v_fma_f32 v54, v15, v30, -v23
	v_fmac_f32_e32 v46, v16, v30
	ds_read2_b32 v[15:16], v80 offset0:68 offset1:193
	v_fma_f32 v48, v76, v28, -v31
	v_fmac_f32_e32 v47, v21, v28
	s_waitcnt vmcnt(8)
	v_mul_f32_e32 v21, v20, v33
	v_mul_f32_e32 v57, v75, v33
	ds_read2_b32 v[28:29], v78 offset0:86 offset1:211
	ds_read2_b32 v[30:31], v83 offset0:104 offset1:229
	v_mul_f32_e32 v55, v74, v35
	v_fma_f32 v58, v75, v32, -v21
	v_fmac_f32_e32 v57, v20, v32
	s_waitcnt lgkmcnt(4)
	v_mul_f32_e32 v20, v51, v35
	s_waitcnt vmcnt(7)
	v_mul_f32_e32 v21, v50, v89
	v_mul_f32_e32 v75, v73, v89
	ds_read2_b32 v[32:33], v81 offset0:92 offset1:217
	v_fmac_f32_e32 v55, v51, v34
	v_fma_f32 v74, v74, v34, -v20
	v_fma_f32 v76, v73, v88, -v21
	s_waitcnt lgkmcnt(4)
	v_mul_f32_e32 v20, v115, v87
	v_mul_f32_e32 v73, v72, v87
	s_waitcnt vmcnt(6)
	v_mul_f32_e32 v21, v114, v91
	v_mul_f32_e32 v85, v71, v91
	s_waitcnt vmcnt(5)
	v_mul_f32_e32 v87, v69, v97
	v_fma_f32 v72, v72, v86, -v20
	s_waitcnt lgkmcnt(3)
	v_mul_f32_e32 v20, v16, v93
	v_fmac_f32_e32 v73, v115, v86
	v_fma_f32 v86, v71, v90, -v21
	v_mul_f32_e32 v71, v70, v93
	v_fmac_f32_e32 v75, v50, v88
	v_fma_f32 v70, v70, v92, -v20
	v_mul_f32_e32 v20, v15, v97
	v_fmac_f32_e32 v87, v15, v96
	v_fmac_f32_e32 v71, v16, v92
	v_mul_f32_e32 v89, v68, v95
	s_waitcnt vmcnt(4) lgkmcnt(2)
	v_mul_f32_e32 v15, v28, v101
	v_mul_f32_e32 v50, v67, v101
	s_waitcnt lgkmcnt(1)
	v_mul_f32_e32 v16, v31, v99
	ds_read2_b32 v[34:35], v43 offset0:110 offset1:235
	v_mul_f32_e32 v23, v29, v95
	v_fmac_f32_e32 v89, v29, v94
	v_fma_f32 v52, v67, v100, -v15
	v_fmac_f32_e32 v50, v28, v100
	v_fma_f32 v56, v66, v98, -v16
	ds_read2_b32 v[28:29], v77 offset0:98 offset1:223
	ds_read2_b32 v[15:16], v49 offset0:116 offset1:241
	v_fma_f32 v21, v69, v96, -v20
	v_fma_f32 v20, v68, v94, -v23
	s_waitcnt vmcnt(3)
	v_mul_f32_e32 v23, v30, v103
	v_mul_f32_e32 v51, v66, v99
	;; [unrolled: 1-line block ×4, first 2 shown]
	s_waitcnt vmcnt(1)
	v_mul_f32_e32 v88, v61, v1
	v_fma_f32 v65, v65, v102, -v23
	s_waitcnt lgkmcnt(3)
	v_mul_f32_e32 v23, v32, v109
	v_fmac_f32_e32 v51, v31, v98
	v_mul_f32_e32 v31, v33, v105
	v_fmac_f32_e32 v66, v30, v102
	s_waitcnt lgkmcnt(2)
	v_mul_f32_e32 v30, v34, v1
	v_fma_f32 v69, v63, v108, -v23
	v_mul_f32_e32 v23, v35, v107
	v_fma_f32 v64, v64, v104, -v31
	v_fmac_f32_e32 v67, v33, v104
	v_mov_b32_e32 v33, 0x64
	v_mul_f32_e32 v68, v63, v109
	v_fma_f32 v1, v62, v106, -v23
	s_waitcnt vmcnt(0) lgkmcnt(1)
	v_mul_f32_e32 v23, v28, v113
	s_waitcnt lgkmcnt(0)
	v_mul_f32_e32 v31, v16, v111
	v_mul_f32_e32 v63, v62, v107
	;; [unrolled: 1-line block ×3, first 2 shown]
	v_fma_f32 v61, v61, v0, -v30
	v_fma_f32 v23, v59, v112, -v23
	v_mul_f32_e32 v59, v59, v113
	v_fma_f32 v5, v5, v110, -v31
	v_mul_f32_e32 v30, v29, v3
	v_mul_u32_u24_sdwa v26, v26, v33 dst_sel:DWORD dst_unused:UNUSED_PAD src0_sel:WORD_0 src1_sel:DWORD
	v_fmac_f32_e32 v88, v34, v0
	v_fmac_f32_e32 v59, v28, v112
	v_add_f32_e32 v28, v11, v5
	v_mul_f32_e32 v0, v60, v3
	v_fma_f32 v3, v60, v2, -v30
	v_add_f32_e32 v30, v23, v20
	v_fmac_f32_e32 v62, v16, v110
	v_add3_u32 v94, 0, v26, v27
	v_add_f32_e32 v26, v5, v21
	v_add_f32_e32 v28, v28, v23
	v_fma_f32 v30, -0.5, v30, v11
	v_sub_f32_e32 v31, v62, v87
	v_sub_f32_e32 v27, v20, v21
	v_fma_f32 v11, -0.5, v26, v11
	v_sub_f32_e32 v26, v23, v5
	v_fmac_f32_e32 v63, v35, v106
	v_sub_f32_e32 v35, v59, v89
	v_add_f32_e32 v28, v28, v20
	v_fmac_f32_e32 v85, v114, v90
	v_fmac_f32_e32 v68, v32, v108
	v_sub_f32_e32 v16, v5, v23
	v_sub_f32_e32 v32, v21, v20
	v_fmamk_f32 v34, v31, 0x3f737871, v30
	v_fmac_f32_e32 v0, v29, v2
	v_add_f32_e32 v29, v3, v86
	v_add_f32_e32 v26, v26, v27
	;; [unrolled: 1-line block ×4, first 2 shown]
	v_fmamk_f32 v28, v35, 0xbf737871, v11
	v_fmac_f32_e32 v11, 0x3f737871, v35
	v_add_f32_e32 v16, v16, v32
	v_fmac_f32_e32 v34, 0x3f167918, v35
	v_fma_f32 v29, -0.5, v29, v12
	v_add_f32_e32 v32, v12, v61
	v_fmac_f32_e32 v12, -0.5, v27
	v_sub_f32_e32 v27, v0, v85
	v_fmac_f32_e32 v28, 0x3f167918, v31
	v_fmac_f32_e32 v11, 0xbf167918, v31
	;; [unrolled: 1-line block ×4, first 2 shown]
	v_sub_f32_e32 v31, v3, v61
	v_sub_f32_e32 v60, v86, v70
	v_fmamk_f32 v95, v27, 0xbf737871, v12
	v_sub_f32_e32 v96, v88, v71
	v_fmac_f32_e32 v12, 0x3f737871, v27
	v_fmac_f32_e32 v28, 0x3e9e377a, v26
	;; [unrolled: 1-line block ×3, first 2 shown]
	ds_read2_b32 v[90:91], v41 offset1:125
	ds_read2_b32 v[92:93], v79 offset0:122 offset1:247
	s_waitcnt lgkmcnt(0)
	s_barrier
	buffer_gl0_inv
	v_fmac_f32_e32 v30, 0xbf167918, v35
	v_add_f32_e32 v26, v31, v60
	v_fmac_f32_e32 v95, 0x3f167918, v96
	v_fmac_f32_e32 v12, 0xbf167918, v96
	ds_write2_b32 v94, v2, v34 offset1:5
	ds_write2_b32 v94, v28, v11 offset0:10 offset1:15
	v_mul_u32_u24_sdwa v2, v24, v33 dst_sel:DWORD dst_unused:UNUSED_PAD src0_sel:WORD_0 src1_sel:DWORD
	v_lshlrev_b32_sdwa v11, v40, v25 dst_sel:DWORD dst_unused:UNUSED_PAD src0_sel:DWORD src1_sel:BYTE_0
	v_fmac_f32_e32 v30, 0x3e9e377a, v16
	v_fmac_f32_e32 v95, 0x3e9e377a, v26
	;; [unrolled: 1-line block ×3, first 2 shown]
	v_sub_f32_e32 v16, v61, v3
	v_add_f32_e32 v24, v32, v3
	v_sub_f32_e32 v25, v70, v86
	v_fmamk_f32 v26, v96, 0x3f737871, v29
	v_add3_u32 v97, 0, v2, v11
	ds_write_b32 v94, v30 offset:80
	v_add_f32_e32 v2, v24, v86
	v_add_f32_e32 v11, v16, v25
	v_fmac_f32_e32 v26, 0x3f167918, v27
	ds_write2_b32 v97, v95, v12 offset0:10 offset1:15
	v_add_f32_e32 v12, v69, v72
	v_add_f32_e32 v2, v2, v70
	v_sub_f32_e32 v16, v1, v69
	v_fmac_f32_e32 v26, 0x3e9e377a, v11
	v_sub_f32_e32 v24, v76, v72
	v_add_f32_e32 v25, v6, v1
	v_fma_f32 v12, -0.5, v12, v6
	v_sub_f32_e32 v28, v63, v75
	v_fmac_f32_e32 v29, 0xbf737871, v96
	ds_write2_b32 v97, v2, v26 offset1:5
	v_add_f32_e32 v2, v16, v24
	v_add_f32_e32 v16, v25, v69
	v_fmamk_f32 v24, v28, 0x3f737871, v12
	v_sub_f32_e32 v25, v68, v73
	v_fmac_f32_e32 v29, 0xbf167918, v27
	v_add_f32_e32 v26, v1, v76
	v_add_f32_e32 v16, v16, v72
	v_add3_u32 v95, 0, v19, v22
	v_fmac_f32_e32 v24, 0x3f167918, v25
	v_fmac_f32_e32 v29, 0x3e9e377a, v11
	v_fma_f32 v6, -0.5, v26, v6
	v_add_f32_e32 v11, v16, v76
	v_sub_f32_e32 v16, v69, v1
	v_fmac_f32_e32 v24, 0x3e9e377a, v2
	v_sub_f32_e32 v19, v72, v76
	ds_write_b32 v97, v29 offset:80
	v_fmamk_f32 v22, v25, 0xbf737871, v6
	v_fmac_f32_e32 v6, 0x3f737871, v25
	ds_write2_b32 v95, v11, v24 offset1:5
	v_add_f32_e32 v11, v16, v19
	v_add_f32_e32 v16, v64, v58
	;; [unrolled: 1-line block ×3, first 2 shown]
	v_fmac_f32_e32 v22, 0x3f167918, v28
	v_fmac_f32_e32 v6, 0xbf167918, v28
	;; [unrolled: 1-line block ×3, first 2 shown]
	v_fma_f32 v16, -0.5, v16, v7
	v_add_f32_e32 v24, v7, v65
	v_fmac_f32_e32 v7, -0.5, v19
	v_sub_f32_e32 v19, v67, v57
	v_fmac_f32_e32 v22, 0x3e9e377a, v11
	v_fmac_f32_e32 v6, 0x3e9e377a, v11
	v_sub_f32_e32 v11, v64, v65
	v_sub_f32_e32 v26, v58, v74
	v_fmamk_f32 v27, v19, 0xbf737871, v7
	v_sub_f32_e32 v28, v66, v55
	v_fmac_f32_e32 v7, 0x3f737871, v19
	v_fmac_f32_e32 v12, 0xbf167918, v25
	ds_write2_b32 v95, v22, v6 offset0:10 offset1:15
	v_add_f32_e32 v6, v11, v26
	v_fmac_f32_e32 v27, 0x3f167918, v28
	v_fmac_f32_e32 v7, 0xbf167918, v28
	;; [unrolled: 1-line block ×3, first 2 shown]
	v_lshlrev_b32_sdwa v2, v40, v18 dst_sel:DWORD dst_unused:UNUSED_PAD src0_sel:DWORD src1_sel:WORD_0
	v_mul_u32_u24_e32 v11, 0x64, v17
	v_fmac_f32_e32 v27, 0x3e9e377a, v6
	v_fmac_f32_e32 v7, 0x3e9e377a, v6
	v_sub_f32_e32 v6, v65, v64
	v_sub_f32_e32 v17, v74, v58
	v_add3_u32 v2, 0, v11, v2
	v_add_f32_e32 v11, v24, v64
	ds_write_b32 v95, v12 offset:80
	v_fmamk_f32 v12, v28, 0x3f737871, v16
	v_add_f32_e32 v6, v6, v17
	v_add_f32_e32 v17, v52, v48
	;; [unrolled: 1-line block ×4, first 2 shown]
	v_fmac_f32_e32 v12, 0x3f167918, v19
	v_fmac_f32_e32 v16, 0xbf737871, v28
	ds_write2_b32 v2, v27, v7 offset0:10 offset1:15
	v_fma_f32 v7, -0.5, v17, v4
	v_add_f32_e32 v17, v4, v56
	v_fmac_f32_e32 v4, -0.5, v18
	v_sub_f32_e32 v18, v50, v47
	v_add_f32_e32 v11, v11, v74
	v_fmac_f32_e32 v12, 0x3e9e377a, v6
	v_fmac_f32_e32 v16, 0xbf167918, v19
	v_sub_f32_e32 v26, v51, v46
	v_sub_f32_e32 v22, v52, v56
	;; [unrolled: 1-line block ×3, first 2 shown]
	v_fmamk_f32 v25, v18, 0xbf737871, v4
	v_fmac_f32_e32 v4, 0x3f737871, v18
	ds_write2_b32 v2, v11, v12 offset1:5
	v_fmac_f32_e32 v16, 0x3e9e377a, v6
	v_add3_u32 v6, 0, v13, v14
	v_sub_f32_e32 v12, v56, v52
	v_sub_f32_e32 v13, v54, v48
	v_add_f32_e32 v11, v17, v52
	v_fmamk_f32 v14, v26, 0x3f737871, v7
	v_fmac_f32_e32 v7, 0xbf737871, v26
	v_add_f32_e32 v19, v22, v24
	v_fmac_f32_e32 v25, 0x3f167918, v26
	v_fmac_f32_e32 v4, 0xbf167918, v26
	v_add_f32_e32 v12, v12, v13
	v_add_f32_e32 v13, v59, v89
	;; [unrolled: 1-line block ×3, first 2 shown]
	v_fmac_f32_e32 v14, 0x3f167918, v18
	v_fmac_f32_e32 v7, 0xbf167918, v18
	;; [unrolled: 1-line block ×4, first 2 shown]
	ds_write_b32 v2, v16 offset:80
	v_sub_f32_e32 v5, v5, v21
	v_add_f32_e32 v16, v90, v62
	v_fma_f32 v96, -0.5, v13, v90
	v_add_f32_e32 v11, v11, v54
	v_fmac_f32_e32 v14, 0x3e9e377a, v12
	v_fmac_f32_e32 v7, 0x3e9e377a, v12
	v_sub_f32_e32 v98, v23, v20
	v_sub_f32_e32 v13, v62, v59
	;; [unrolled: 1-line block ×3, first 2 shown]
	v_add_f32_e32 v16, v16, v59
	v_fmamk_f32 v99, v5, 0xbf737871, v96
	ds_write2_b32 v6, v25, v4 offset0:10 offset1:15
	ds_write2_b32 v6, v11, v14 offset1:5
	ds_write_b32 v6, v7 offset:80
	v_add_f32_e32 v7, v62, v87
	v_add_f32_e32 v100, v13, v17
	;; [unrolled: 1-line block ×3, first 2 shown]
	v_fmac_f32_e32 v99, 0xbf167918, v98
	v_sub_f32_e32 v59, v59, v62
	v_fma_f32 v7, -0.5, v7, v90
	v_sub_f32_e32 v62, v89, v87
	v_add_f32_e32 v4, v12, v87
	v_fmac_f32_e32 v99, 0x3e9e377a, v100
	s_waitcnt lgkmcnt(0)
	v_fmamk_f32 v87, v98, 0x3f737871, v7
	v_fmac_f32_e32 v7, 0xbf737871, v98
	s_barrier
	buffer_gl0_inv
	ds_read_b32 v60, v41 offset:12000
	ds_read2_b32 v[16:17], v41 offset1:125
	ds_read2_b32 v[11:12], v49 offset0:116 offset1:241
	ds_read2_b32 v[20:21], v77 offset0:98 offset1:223
	;; [unrolled: 1-line block ×11, first 2 shown]
	s_waitcnt lgkmcnt(0)
	s_barrier
	buffer_gl0_inv
	v_fmac_f32_e32 v87, 0xbf167918, v5
	ds_write2_b32 v94, v4, v99 offset1:5
	v_fmac_f32_e32 v96, 0x3f737871, v5
	v_fmac_f32_e32 v7, 0x3f167918, v5
	v_add_f32_e32 v4, v0, v85
	v_add_f32_e32 v5, v88, v71
	;; [unrolled: 1-line block ×3, first 2 shown]
	v_sub_f32_e32 v3, v3, v86
	v_add_f32_e32 v62, v91, v88
	v_fma_f32 v4, -0.5, v4, v91
	v_fmac_f32_e32 v91, -0.5, v5
	v_fmac_f32_e32 v87, 0x3e9e377a, v59
	v_sub_f32_e32 v5, v0, v88
	v_sub_f32_e32 v86, v85, v71
	v_fmac_f32_e32 v7, 0x3e9e377a, v59
	v_sub_f32_e32 v59, v61, v70
	v_fmamk_f32 v61, v3, 0x3f737871, v91
	v_fmac_f32_e32 v91, 0xbf737871, v3
	v_add_f32_e32 v5, v5, v86
	v_add_f32_e32 v62, v62, v0
	v_sub_f32_e32 v0, v88, v0
	v_sub_f32_e32 v70, v71, v85
	v_fmamk_f32 v86, v59, 0xbf737871, v4
	v_fmac_f32_e32 v4, 0x3f737871, v59
	v_fmac_f32_e32 v96, 0x3f167918, v98
	v_fmac_f32_e32 v61, 0xbf167918, v59
	v_fmac_f32_e32 v91, 0x3f167918, v59
	v_add_f32_e32 v59, v62, v85
	v_add_f32_e32 v0, v0, v70
	v_fmac_f32_e32 v86, 0xbf167918, v3
	v_fmac_f32_e32 v4, 0x3f167918, v3
	;; [unrolled: 1-line block ×5, first 2 shown]
	v_add_f32_e32 v3, v59, v71
	v_fmac_f32_e32 v86, 0x3e9e377a, v0
	v_fmac_f32_e32 v4, 0x3e9e377a, v0
	v_sub_f32_e32 v0, v1, v76
	v_add_f32_e32 v1, v68, v73
	ds_write2_b32 v94, v87, v7 offset0:10 offset1:15
	ds_write_b32 v94, v96 offset:80
	ds_write2_b32 v97, v61, v91 offset0:10 offset1:15
	ds_write2_b32 v97, v3, v86 offset1:5
	ds_write_b32 v97, v4 offset:80
	v_sub_f32_e32 v3, v63, v68
	v_sub_f32_e32 v4, v75, v73
	v_add_f32_e32 v5, v63, v75
	v_add_f32_e32 v7, v92, v63
	v_fma_f32 v1, -0.5, v1, v92
	v_sub_f32_e32 v59, v69, v72
	v_add_f32_e32 v3, v3, v4
	v_fma_f32 v4, -0.5, v5, v92
	v_add_f32_e32 v5, v7, v68
	v_fmamk_f32 v7, v0, 0xbf737871, v1
	v_sub_f32_e32 v61, v68, v63
	v_sub_f32_e32 v62, v73, v75
	v_fmamk_f32 v63, v59, 0x3f737871, v4
	v_fmac_f32_e32 v4, 0xbf737871, v59
	v_fmac_f32_e32 v1, 0x3f737871, v0
	v_add_f32_e32 v5, v5, v73
	v_fmac_f32_e32 v7, 0xbf167918, v59
	v_add_f32_e32 v61, v61, v62
	v_add_f32_e32 v62, v67, v57
	;; [unrolled: 1-line block ×3, first 2 shown]
	v_fmac_f32_e32 v63, 0xbf167918, v0
	v_fmac_f32_e32 v4, 0x3f167918, v0
	;; [unrolled: 1-line block ×3, first 2 shown]
	v_add_f32_e32 v5, v5, v75
	v_fmac_f32_e32 v7, 0x3e9e377a, v3
	v_sub_f32_e32 v0, v64, v58
	v_fma_f32 v58, -0.5, v62, v93
	v_add_f32_e32 v62, v93, v66
	v_fmac_f32_e32 v93, -0.5, v68
	v_sub_f32_e32 v65, v65, v74
	v_fmac_f32_e32 v63, 0x3e9e377a, v61
	v_fmac_f32_e32 v4, 0x3e9e377a, v61
	;; [unrolled: 1-line block ×3, first 2 shown]
	v_sub_f32_e32 v59, v67, v66
	v_sub_f32_e32 v64, v57, v55
	v_fmamk_f32 v68, v0, 0x3f737871, v93
	v_fmac_f32_e32 v93, 0xbf737871, v0
	ds_write2_b32 v95, v5, v7 offset1:5
	ds_write2_b32 v95, v63, v4 offset0:10 offset1:15
	ds_write_b32 v95, v1 offset:80
	v_fmamk_f32 v7, v65, 0xbf737871, v58
	v_fmac_f32_e32 v58, 0x3f737871, v65
	v_add_f32_e32 v3, v59, v64
	v_fmac_f32_e32 v68, 0xbf167918, v65
	v_fmac_f32_e32 v93, 0x3f167918, v65
	v_add_f32_e32 v1, v62, v67
	v_sub_f32_e32 v4, v66, v67
	v_sub_f32_e32 v5, v55, v57
	v_fmac_f32_e32 v7, 0xbf167918, v0
	v_fmac_f32_e32 v58, 0x3f167918, v0
	v_mov_b32_e32 v0, 0x47af
	v_fmac_f32_e32 v68, 0x3e9e377a, v3
	v_fmac_f32_e32 v93, 0x3e9e377a, v3
	v_add_f32_e32 v1, v1, v57
	v_add_f32_e32 v3, v4, v5
	v_mul_u32_u24_sdwa v4, v36, v0 dst_sel:DWORD dst_unused:UNUSED_PAD src0_sel:WORD_0 src1_sel:DWORD
	v_sub_f32_e32 v5, v52, v48
	v_add_f32_e32 v48, v15, v51
	v_add_f32_e32 v1, v1, v55
	v_fmac_f32_e32 v7, 0x3e9e377a, v3
	v_lshrrev_b32_e32 v4, 16, v4
	v_add_f32_e32 v52, v50, v47
	v_add_f32_e32 v48, v48, v50
	v_fmac_f32_e32 v58, 0x3e9e377a, v3
	ds_write2_b32 v2, v1, v7 offset1:5
	v_sub_f32_e32 v1, v51, v50
	v_sub_f32_e32 v7, v46, v47
	v_sub_nc_u16 v55, v36, v4
	v_sub_f32_e32 v3, v56, v54
	v_add_f32_e32 v54, v51, v46
	v_sub_f32_e32 v50, v50, v51
	v_add_f32_e32 v1, v1, v7
	v_add_f32_e32 v7, v48, v47
	v_fma_f32 v48, -0.5, v52, v15
	v_lshrrev_b16 v52, 1, v55
	v_mul_u32_u24_sdwa v51, v37, v0 dst_sel:DWORD dst_unused:UNUSED_PAD src0_sel:WORD_0 src1_sel:DWORD
	v_mul_u32_u24_sdwa v0, v38, v0 dst_sel:DWORD dst_unused:UNUSED_PAD src0_sel:WORD_0 src1_sel:DWORD
	v_fmac_f32_e32 v15, -0.5, v54
	v_add_f32_e32 v7, v7, v46
	v_add_nc_u16 v4, v52, v4
	v_lshrrev_b32_e32 v51, 16, v51
	v_sub_f32_e32 v46, v47, v46
	v_fmamk_f32 v47, v3, 0xbf737871, v48
	v_fmac_f32_e32 v48, 0x3f737871, v3
	v_lshrrev_b16 v54, 4, v4
	v_sub_nc_u16 v4, v37, v51
	v_lshrrev_b32_e32 v0, 16, v0
	v_fmamk_f32 v52, v5, 0x3f737871, v15
	v_fmac_f32_e32 v15, 0xbf737871, v5
	v_fmac_f32_e32 v47, 0xbf167918, v5
	;; [unrolled: 1-line block ×3, first 2 shown]
	v_lshrrev_b16 v4, 1, v4
	v_sub_nc_u16 v5, v38, v0
	v_fmac_f32_e32 v52, 0xbf167918, v3
	v_fmac_f32_e32 v47, 0x3e9e377a, v1
	;; [unrolled: 1-line block ×3, first 2 shown]
	v_add_nc_u16 v4, v4, v51
	v_lshrrev_b16 v1, 1, v5
	v_fmac_f32_e32 v15, 0x3f167918, v3
	v_mul_lo_u16 v3, v54, 25
	v_add_f32_e32 v46, v50, v46
	v_lshrrev_b16 v70, 4, v4
	v_add_nc_u16 v0, v1, v0
	ds_write2_b32 v2, v68, v93 offset0:10 offset1:15
	v_sub_nc_u16 v62, v36, v3
	v_fmac_f32_e32 v52, 0x3e9e377a, v46
	v_mul_lo_u16 v3, v70, 25
	v_lshrrev_b16 v85, 4, v0
	v_fmac_f32_e32 v15, 0x3e9e377a, v46
	ds_write_b32 v2, v58 offset:80
	ds_write2_b32 v6, v7, v47 offset1:5
	ds_write2_b32 v6, v52, v15 offset0:10 offset1:15
	v_lshlrev_b32_sdwa v2, v42, v62 dst_sel:DWORD dst_unused:UNUSED_PAD src0_sel:DWORD src1_sel:WORD_0
	v_sub_nc_u16 v15, v37, v3
	v_mul_lo_u16 v3, v85, 25
	ds_write_b32 v6, v48 offset:80
	s_waitcnt lgkmcnt(0)
	s_barrier
	buffer_gl0_inv
	global_load_dwordx4 v[55:58], v2, s[8:9] offset:176
	v_mul_lo_u16 v0, v44, 41
	v_lshlrev_b32_sdwa v1, v42, v15 dst_sel:DWORD dst_unused:UNUSED_PAD src0_sel:DWORD src1_sel:WORD_0
	v_sub_nc_u16 v87, v38, v3
	v_mul_lo_u16 v3, v45, 41
	v_lshrrev_b16 v89, 10, v0
	global_load_dwordx4 v[63:66], v1, s[8:9] offset:176
	v_lshlrev_b32_sdwa v4, v42, v87 dst_sel:DWORD dst_unused:UNUSED_PAD src0_sel:DWORD src1_sel:WORD_0
	v_lshrrev_b16 v91, 10, v3
	v_mul_lo_u16 v0, v89, 25
	global_load_dwordx4 v[71:74], v4, s[8:9] offset:176
	v_mul_lo_u16 v3, v91, 25
	v_sub_nc_u16 v90, v39, v0
	v_sub_nc_u16 v92, v10, v3
	v_lshlrev_b32_sdwa v0, v42, v90 dst_sel:DWORD dst_unused:UNUSED_PAD src0_sel:DWORD src1_sel:BYTE_0
	v_lshlrev_b32_sdwa v5, v42, v92 dst_sel:DWORD dst_unused:UNUSED_PAD src0_sel:DWORD src1_sel:BYTE_0
	s_clause 0x6
	global_load_dwordx4 v[93:96], v0, s[8:9] offset:176
	global_load_dwordx4 v[97:100], v5, s[8:9] offset:176
	;; [unrolled: 1-line block ×7, first 2 shown]
	ds_read_b32 v48, v41 offset:12000
	ds_read2_b32 v[46:47], v84 offset0:74 offset1:199
	ds_read2_b32 v[67:68], v82 offset0:62 offset1:187
	;; [unrolled: 1-line block ×5, first 2 shown]
	s_waitcnt vmcnt(9)
	v_mul_f32_e32 v42, v60, v58
	s_waitcnt lgkmcnt(5)
	v_mul_f32_e32 v45, v48, v58
	s_waitcnt lgkmcnt(4)
	v_mul_f32_e32 v51, v47, v56
	v_mul_f32_e32 v44, v35, v56
	v_fmac_f32_e32 v42, v48, v57
	v_fma_f32 v45, v60, v57, -v45
	s_waitcnt vmcnt(8)
	v_mul_f32_e32 v48, v46, v64
	s_waitcnt lgkmcnt(3)
	v_mul_f32_e32 v52, v68, v66
	v_mul_f32_e32 v50, v34, v64
	v_fma_f32 v35, v35, v55, -v51
	v_fmac_f32_e32 v44, v47, v55
	v_fma_f32 v51, v34, v63, -v48
	v_mul_f32_e32 v48, v33, v66
	v_fma_f32 v52, v33, v65, -v52
	s_waitcnt vmcnt(7)
	v_mul_f32_e32 v33, v67, v74
	s_waitcnt lgkmcnt(2)
	v_mul_f32_e32 v34, v76, v72
	v_mul_f32_e32 v55, v32, v74
	v_mul_f32_e32 v56, v31, v72
	v_fmac_f32_e32 v48, v68, v65
	v_fma_f32 v60, v32, v73, -v33
	v_fma_f32 v58, v31, v71, -v34
	ds_read2_b32 v[31:32], v83 offset0:104 offset1:229
	v_fmac_f32_e32 v55, v67, v73
	ds_read2_b32 v[67:68], v81 offset0:92 offset1:217
	v_fmac_f32_e32 v50, v46, v63
	s_waitcnt vmcnt(6) lgkmcnt(3)
	v_mul_f32_e32 v34, v114, v96
	v_mul_f32_e32 v33, v75, v94
	;; [unrolled: 1-line block ×4, first 2 shown]
	v_fmac_f32_e32 v56, v76, v71
	v_fma_f32 v69, v29, v95, -v34
	s_waitcnt vmcnt(4) lgkmcnt(2)
	v_mul_f32_e32 v34, v115, v104
	v_fma_f32 v71, v30, v93, -v33
	v_fmac_f32_e32 v65, v75, v93
	v_mul_f32_e32 v29, v113, v100
	v_mul_f32_e32 v30, v116, v98
	;; [unrolled: 1-line block ×3, first 2 shown]
	ds_read2_b32 v[93:94], v43 offset0:110 offset1:235
	v_fma_f32 v46, v18, v103, -v34
	v_fmac_f32_e32 v64, v114, v95
	ds_read2_b32 v[95:96], v77 offset0:98 offset1:223
	s_waitcnt lgkmcnt(3)
	v_mul_f32_e32 v18, v32, v102
	v_mul_f32_e32 v73, v28, v100
	;; [unrolled: 1-line block ×3, first 2 shown]
	v_fma_f32 v29, v28, v99, -v29
	v_fma_f32 v28, v19, v97, -v30
	;; [unrolled: 1-line block ×3, first 2 shown]
	ds_read2_b32 v[18:19], v49 offset0:116 offset1:241
	s_waitcnt vmcnt(3)
	v_mul_f32_e32 v30, v31, v106
	v_mul_f32_e32 v57, v26, v106
	v_mul_f32_e32 v59, v25, v108
	s_waitcnt vmcnt(1)
	v_mul_f32_e32 v75, v22, v1
	s_waitcnt vmcnt(0)
	v_mul_f32_e32 v86, v12, v5
	v_fma_f32 v61, v26, v105, -v30
	s_waitcnt lgkmcnt(3)
	v_mul_f32_e32 v26, v68, v108
	v_fmac_f32_e32 v73, v113, v99
	v_mul_f32_e32 v88, v20, v7
	s_waitcnt lgkmcnt(2)
	v_fmac_f32_e32 v75, v93, v0
	v_fmac_f32_e32 v74, v116, v97
	v_fma_f32 v63, v25, v107, -v26
	v_mul_f32_e32 v25, v93, v1
	s_waitcnt lgkmcnt(1)
	v_mul_f32_e32 v1, v95, v7
	v_mul_f32_e32 v93, v21, v3
	;; [unrolled: 1-line block ×4, first 2 shown]
	v_fma_f32 v76, v22, v0, -v25
	v_fma_f32 v22, v20, v6, -v1
	s_waitcnt lgkmcnt(0)
	v_mul_f32_e32 v0, v19, v5
	v_fmac_f32_e32 v86, v19, v4
	v_mul_f32_e32 v1, v96, v3
	v_fmac_f32_e32 v88, v95, v6
	v_mul_f32_e32 v66, v24, v112
	v_fma_f32 v5, v12, v4, -v0
	v_add_f32_e32 v0, v22, v28
	v_sub_f32_e32 v6, v86, v73
	v_fmac_f32_e32 v59, v68, v107
	v_fma_f32 v68, v24, v111, -v27
	v_add_f32_e32 v3, v16, v5
	v_fma_f32 v4, -0.5, v0, v16
	v_mul_f32_e32 v24, v94, v110
	v_sub_f32_e32 v0, v5, v22
	v_sub_f32_e32 v7, v29, v28
	v_add_f32_e32 v3, v3, v22
	v_mov_b32_e32 v12, 0x1f4
	v_fmamk_f32 v19, v6, 0x3f737871, v4
	v_sub_f32_e32 v20, v88, v74
	v_fmac_f32_e32 v66, v67, v111
	v_mul_f32_e32 v67, v23, v110
	v_add_f32_e32 v3, v3, v28
	v_fma_f32 v72, v23, v109, -v24
	v_add_f32_e32 v7, v0, v7
	v_lshlrev_b32_sdwa v0, v40, v92 dst_sel:DWORD dst_unused:UNUSED_PAD src0_sel:DWORD src1_sel:BYTE_0
	v_mul_u32_u24_sdwa v23, v91, v12 dst_sel:DWORD dst_unused:UNUSED_PAD src0_sel:WORD_0 src1_sel:DWORD
	v_fmac_f32_e32 v19, 0x3f167918, v20
	v_fmac_f32_e32 v67, v94, v109
	v_fma_f32 v94, v21, v2, -v1
	v_fmac_f32_e32 v93, v96, v2
	v_add_f32_e32 v2, v3, v29
	v_add_f32_e32 v3, v5, v29
	v_add3_u32 v95, 0, v23, v0
	v_fmac_f32_e32 v19, 0x3e9e377a, v7
	v_sub_f32_e32 v21, v22, v5
	v_sub_f32_e32 v23, v28, v29
	v_fma_f32 v3, -0.5, v3, v16
	ds_read2_b32 v[91:92], v41 offset1:125
	ds_read2_b32 v[0:1], v79 offset0:122 offset1:247
	s_waitcnt lgkmcnt(0)
	s_barrier
	buffer_gl0_inv
	ds_write2_b32 v95, v2, v19 offset1:25
	v_add_f32_e32 v2, v94, v71
	v_add_f32_e32 v19, v76, v69
	;; [unrolled: 1-line block ×3, first 2 shown]
	v_fmamk_f32 v21, v20, 0xbf737871, v3
	v_fmac_f32_e32 v3, 0x3f737871, v20
	v_fmac_f32_e32 v4, 0xbf737871, v6
	v_fma_f32 v2, -0.5, v2, v17
	v_add_f32_e32 v23, v17, v76
	v_fmac_f32_e32 v17, -0.5, v19
	v_sub_f32_e32 v19, v93, v65
	v_fmac_f32_e32 v21, 0x3f167918, v6
	v_sub_f32_e32 v27, v75, v64
	v_fmac_f32_e32 v3, 0xbf167918, v6
	v_fmac_f32_e32 v4, 0xbf167918, v20
	v_sub_f32_e32 v24, v94, v76
	v_sub_f32_e32 v25, v71, v69
	v_fmamk_f32 v26, v19, 0xbf737871, v17
	v_fmac_f32_e32 v17, 0x3f737871, v19
	v_fmac_f32_e32 v21, 0x3e9e377a, v16
	;; [unrolled: 1-line block ×4, first 2 shown]
	v_sub_f32_e32 v7, v76, v94
	v_sub_f32_e32 v16, v69, v71
	v_add_f32_e32 v20, v23, v94
	v_fmamk_f32 v23, v27, 0x3f737871, v2
	v_add_f32_e32 v6, v24, v25
	v_fmac_f32_e32 v26, 0x3f167918, v27
	v_fmac_f32_e32 v17, 0xbf167918, v27
	v_lshlrev_b32_sdwa v24, v40, v90 dst_sel:DWORD dst_unused:UNUSED_PAD src0_sel:DWORD src1_sel:BYTE_0
	v_mul_u32_u24_sdwa v25, v89, v12 dst_sel:DWORD dst_unused:UNUSED_PAD src0_sel:WORD_0 src1_sel:DWORD
	v_add_f32_e32 v7, v7, v16
	v_add_f32_e32 v16, v20, v71
	v_fmac_f32_e32 v23, 0x3f167918, v19
	v_fmac_f32_e32 v26, 0x3e9e377a, v6
	;; [unrolled: 1-line block ×3, first 2 shown]
	v_add3_u32 v89, 0, v25, v24
	v_fmac_f32_e32 v2, 0xbf737871, v27
	v_add_f32_e32 v6, v16, v69
	v_fmac_f32_e32 v23, 0x3e9e377a, v7
	ds_write2_b32 v95, v21, v3 offset0:50 offset1:75
	ds_write_b32 v95, v4 offset:400
	ds_write2_b32 v89, v26, v17 offset0:50 offset1:75
	ds_write2_b32 v89, v6, v23 offset1:25
	v_fmac_f32_e32 v2, 0xbf167918, v19
	v_sub_f32_e32 v3, v72, v68
	v_sub_f32_e32 v4, v60, v58
	v_add_f32_e32 v6, v72, v60
	v_sub_f32_e32 v17, v58, v60
	v_fmac_f32_e32 v2, 0x3e9e377a, v7
	v_sub_f32_e32 v19, v67, v55
	v_add_f32_e32 v3, v3, v4
	v_sub_f32_e32 v4, v66, v56
	v_fma_f32 v6, -0.5, v6, v13
	ds_write_b32 v89, v2 offset:400
	v_sub_f32_e32 v2, v68, v72
	v_add_f32_e32 v21, v68, v58
	v_add_f32_e32 v23, v13, v72
	v_fmamk_f32 v20, v4, 0xbf737871, v6
	v_fmac_f32_e32 v6, 0x3f737871, v4
	v_lshlrev_b32_sdwa v7, v40, v87 dst_sel:DWORD dst_unused:UNUSED_PAD src0_sel:DWORD src1_sel:WORD_0
	v_mul_u32_u24_sdwa v16, v85, v12 dst_sel:DWORD dst_unused:UNUSED_PAD src0_sel:WORD_0 src1_sel:DWORD
	v_add_f32_e32 v2, v2, v17
	v_fmac_f32_e32 v20, 0x3f167918, v19
	v_fma_f32 v13, -0.5, v21, v13
	v_add_f32_e32 v17, v23, v68
	v_fmac_f32_e32 v6, 0xbf167918, v19
	v_add3_u32 v85, 0, v16, v7
	v_fmac_f32_e32 v20, 0x3e9e377a, v2
	v_fmamk_f32 v7, v19, 0x3f737871, v13
	v_add_f32_e32 v16, v17, v58
	v_add_f32_e32 v17, v63, v51
	v_fmac_f32_e32 v6, 0x3e9e377a, v2
	v_add_f32_e32 v2, v61, v52
	v_fmac_f32_e32 v57, v31, v105
	v_fmac_f32_e32 v7, 0x3f167918, v4
	v_fma_f32 v17, -0.5, v17, v14
	v_add_f32_e32 v21, v14, v61
	v_fmac_f32_e32 v14, -0.5, v2
	v_sub_f32_e32 v23, v59, v50
	v_add_f32_e32 v16, v16, v60
	v_fmac_f32_e32 v7, 0x3e9e377a, v3
	v_fmac_f32_e32 v13, 0xbf737871, v19
	v_sub_f32_e32 v2, v63, v61
	v_sub_f32_e32 v19, v51, v52
	v_fmamk_f32 v24, v23, 0xbf737871, v14
	v_sub_f32_e32 v25, v57, v48
	v_fmac_f32_e32 v14, 0x3f737871, v23
	ds_write2_b32 v85, v16, v7 offset1:25
	v_fmac_f32_e32 v13, 0xbf167918, v4
	v_add_f32_e32 v2, v2, v19
	v_fmac_f32_e32 v24, 0x3f167918, v25
	v_fmac_f32_e32 v14, 0xbf167918, v25
	v_lshlrev_b32_sdwa v4, v40, v15 dst_sel:DWORD dst_unused:UNUSED_PAD src0_sel:DWORD src1_sel:WORD_0
	v_mul_u32_u24_sdwa v7, v70, v12 dst_sel:DWORD dst_unused:UNUSED_PAD src0_sel:WORD_0 src1_sel:DWORD
	v_fmac_f32_e32 v13, 0x3e9e377a, v3
	v_fmac_f32_e32 v24, 0x3e9e377a, v2
	;; [unrolled: 1-line block ×3, first 2 shown]
	v_sub_f32_e32 v3, v61, v63
	v_add3_u32 v2, 0, v7, v4
	v_sub_f32_e32 v4, v52, v51
	v_fmamk_f32 v7, v25, 0x3f737871, v17
	v_fmac_f32_e32 v17, 0xbf737871, v25
	ds_write2_b32 v85, v20, v6 offset0:50 offset1:75
	v_add_f32_e32 v6, v21, v63
	v_add_f32_e32 v3, v3, v4
	v_fmac_f32_e32 v7, 0x3f167918, v23
	v_fmac_f32_e32 v17, 0xbf167918, v23
	;; [unrolled: 1-line block ×3, first 2 shown]
	v_add_f32_e32 v6, v6, v51
	ds_write_b32 v85, v13 offset:400
	v_add_f32_e32 v4, v46, v35
	v_fmac_f32_e32 v17, 0x3e9e377a, v3
	v_fmac_f32_e32 v7, 0x3e9e377a, v3
	v_add_f32_e32 v6, v6, v52
	v_lshlrev_b32_sdwa v21, v40, v62 dst_sel:DWORD dst_unused:UNUSED_PAD src0_sel:DWORD src1_sel:WORD_0
	v_mul_u32_u24_sdwa v12, v54, v12 dst_sel:DWORD dst_unused:UNUSED_PAD src0_sel:WORD_0 src1_sel:DWORD
	ds_write_b32 v2, v17 offset:400
	v_sub_f32_e32 v17, v5, v29
	v_add_f32_e32 v5, v91, v86
	v_fmac_f32_e32 v33, v115, v103
	ds_write2_b32 v2, v24, v14 offset0:50 offset1:75
	v_add_f32_e32 v13, v47, v45
	v_fma_f32 v4, -0.5, v4, v11
	v_add_f32_e32 v14, v11, v47
	v_sub_f32_e32 v20, v34, v42
	ds_write2_b32 v2, v6, v7 offset1:25
	v_add3_u32 v3, 0, v12, v21
	v_sub_f32_e32 v7, v47, v46
	v_sub_f32_e32 v12, v45, v35
	v_add_f32_e32 v5, v5, v88
	v_fmac_f32_e32 v11, -0.5, v13
	v_sub_f32_e32 v13, v33, v44
	v_add_f32_e32 v6, v14, v46
	v_fmamk_f32 v14, v20, 0x3f737871, v4
	v_fmac_f32_e32 v4, 0xbf737871, v20
	v_add_f32_e32 v7, v7, v12
	v_add_f32_e32 v12, v88, v74
	;; [unrolled: 1-line block ×4, first 2 shown]
	v_fmamk_f32 v19, v13, 0xbf737871, v11
	v_fmac_f32_e32 v11, 0x3f737871, v13
	v_fmac_f32_e32 v14, 0x3f167918, v13
	;; [unrolled: 1-line block ×3, first 2 shown]
	v_fma_f32 v40, -0.5, v12, v91
	v_sub_f32_e32 v12, v86, v88
	v_sub_f32_e32 v13, v73, v74
	v_add_f32_e32 v90, v5, v73
	v_sub_f32_e32 v86, v88, v86
	v_sub_f32_e32 v73, v74, v73
	;; [unrolled: 1-line block ×3, first 2 shown]
	v_fma_f32 v91, -0.5, v23, v91
	v_sub_f32_e32 v15, v46, v47
	v_sub_f32_e32 v16, v35, v45
	v_fmamk_f32 v70, v17, 0xbf737871, v40
	v_add_f32_e32 v73, v86, v73
	v_add_f32_e32 v86, v93, v65
	;; [unrolled: 1-line block ×3, first 2 shown]
	v_fmamk_f32 v74, v62, 0x3f737871, v91
	v_fmac_f32_e32 v91, 0xbf737871, v62
	v_add_f32_e32 v15, v15, v16
	v_fmac_f32_e32 v19, 0x3f167918, v20
	v_fmac_f32_e32 v11, 0xbf167918, v20
	v_add_f32_e32 v87, v12, v13
	v_fmac_f32_e32 v70, 0xbf167918, v62
	v_sub_f32_e32 v71, v94, v71
	v_fma_f32 v86, -0.5, v86, v92
	v_add_f32_e32 v94, v92, v75
	v_fmac_f32_e32 v92, -0.5, v88
	v_add_f32_e32 v6, v6, v35
	v_fmac_f32_e32 v74, 0xbf167918, v17
	v_fmac_f32_e32 v91, 0x3f167918, v17
	;; [unrolled: 1-line block ×6, first 2 shown]
	v_sub_f32_e32 v17, v93, v75
	v_sub_f32_e32 v88, v65, v64
	;; [unrolled: 1-line block ×3, first 2 shown]
	v_fmamk_f32 v76, v71, 0x3f737871, v92
	v_fmac_f32_e32 v92, 0xbf737871, v71
	v_add_f32_e32 v6, v6, v45
	v_fmac_f32_e32 v14, 0x3e9e377a, v7
	v_fmac_f32_e32 v74, 0x3e9e377a, v73
	;; [unrolled: 1-line block ×4, first 2 shown]
	ds_write2_b32 v3, v19, v11 offset0:50 offset1:75
	ds_write2_b32 v3, v6, v14 offset1:25
	ds_write_b32 v3, v4 offset:400
	s_waitcnt lgkmcnt(0)
	s_barrier
	buffer_gl0_inv
	ds_read_b32 v54, v41 offset:12000
	ds_read2_b32 v[11:12], v41 offset1:125
	ds_read2_b32 v[6:7], v49 offset0:116 offset1:241
	ds_read2_b32 v[15:16], v77 offset0:98 offset1:223
	;; [unrolled: 1-line block ×11, first 2 shown]
	s_waitcnt lgkmcnt(0)
	s_barrier
	buffer_gl0_inv
	v_fmac_f32_e32 v40, 0x3f167918, v62
	v_add_f32_e32 v17, v17, v88
	v_fmac_f32_e32 v76, 0xbf167918, v69
	ds_write2_b32 v95, v90, v70 offset1:25
	ds_write2_b32 v95, v74, v91 offset0:50 offset1:75
	v_fmac_f32_e32 v92, 0x3f167918, v69
	v_add_f32_e32 v62, v94, v93
	v_sub_f32_e32 v70, v75, v93
	v_sub_f32_e32 v73, v64, v65
	v_fmamk_f32 v74, v69, 0xbf737871, v86
	v_fmac_f32_e32 v86, 0x3f737871, v69
	v_fmac_f32_e32 v76, 0x3e9e377a, v17
	;; [unrolled: 1-line block ×3, first 2 shown]
	v_add_f32_e32 v17, v62, v65
	v_add_f32_e32 v62, v70, v73
	v_fmac_f32_e32 v74, 0xbf167918, v71
	v_fmac_f32_e32 v86, 0x3f167918, v71
	;; [unrolled: 1-line block ×3, first 2 shown]
	ds_write_b32 v95, v40 offset:400
	ds_write2_b32 v89, v76, v92 offset0:50 offset1:75
	v_fmac_f32_e32 v74, 0x3e9e377a, v62
	v_fmac_f32_e32 v86, 0x3e9e377a, v62
	v_add_f32_e32 v62, v66, v56
	v_sub_f32_e32 v40, v72, v60
	v_add_f32_e32 v60, v0, v67
	v_add_f32_e32 v69, v67, v55
	v_add_f32_e32 v17, v17, v64
	v_sub_f32_e32 v64, v67, v66
	v_sub_f32_e32 v65, v55, v56
	v_fma_f32 v62, -0.5, v62, v0
	v_add_f32_e32 v60, v60, v66
	v_sub_f32_e32 v58, v68, v58
	v_fma_f32 v0, -0.5, v69, v0
	v_add_f32_e32 v64, v64, v65
	v_fmamk_f32 v65, v40, 0xbf737871, v62
	v_add_f32_e32 v60, v60, v56
	v_sub_f32_e32 v66, v66, v67
	v_sub_f32_e32 v56, v56, v55
	v_fmamk_f32 v67, v58, 0x3f737871, v0
	v_fmac_f32_e32 v0, 0xbf737871, v58
	v_fmac_f32_e32 v65, 0xbf167918, v58
	;; [unrolled: 1-line block ×3, first 2 shown]
	v_add_f32_e32 v56, v66, v56
	v_fmac_f32_e32 v67, 0xbf167918, v40
	v_fmac_f32_e32 v0, 0x3f167918, v40
	v_add_f32_e32 v40, v60, v55
	v_fmac_f32_e32 v65, 0x3e9e377a, v64
	ds_write2_b32 v89, v17, v74 offset1:25
	v_fmac_f32_e32 v67, 0x3e9e377a, v56
	v_fmac_f32_e32 v0, 0x3e9e377a, v56
	ds_write_b32 v89, v86 offset:400
	ds_write2_b32 v85, v40, v65 offset1:25
	ds_write2_b32 v85, v67, v0 offset0:50 offset1:75
	v_add_f32_e32 v0, v59, v50
	v_add_f32_e32 v55, v57, v48
	;; [unrolled: 1-line block ×3, first 2 shown]
	v_sub_f32_e32 v17, v61, v52
	v_sub_f32_e32 v40, v57, v59
	;; [unrolled: 1-line block ×3, first 2 shown]
	v_fma_f32 v0, -0.5, v0, v1
	v_sub_f32_e32 v51, v63, v51
	v_fmac_f32_e32 v1, -0.5, v55
	v_add_f32_e32 v55, v56, v59
	v_fmac_f32_e32 v62, 0x3f167918, v58
	v_add_f32_e32 v40, v40, v52
	v_fmamk_f32 v52, v17, 0xbf737871, v0
	v_fmac_f32_e32 v0, 0x3f737871, v17
	v_sub_f32_e32 v56, v59, v57
	v_sub_f32_e32 v57, v50, v48
	v_fmamk_f32 v58, v51, 0x3f737871, v1
	v_fmac_f32_e32 v1, 0xbf737871, v51
	v_add_f32_e32 v50, v55, v50
	v_mov_b32_e32 v55, 0x625
	v_fmac_f32_e32 v52, 0xbf167918, v51
	v_fmac_f32_e32 v0, 0x3f167918, v51
	;; [unrolled: 1-line block ×4, first 2 shown]
	v_add_f32_e32 v17, v50, v48
	v_mul_u32_u24_sdwa v48, v36, v55 dst_sel:DWORD dst_unused:UNUSED_PAD src0_sel:WORD_0 src1_sel:DWORD
	v_fmac_f32_e32 v52, 0x3e9e377a, v40
	v_fmac_f32_e32 v0, 0x3e9e377a, v40
	v_sub_f32_e32 v40, v47, v45
	v_add_f32_e32 v51, v56, v57
	v_lshrrev_b32_e32 v45, 16, v48
	v_sub_f32_e32 v35, v46, v35
	v_add_f32_e32 v46, v18, v34
	v_sub_f32_e32 v47, v34, v33
	v_sub_f32_e32 v48, v42, v44
	v_sub_nc_u16 v50, v36, v45
	v_fmac_f32_e32 v58, 0x3e9e377a, v51
	v_fmac_f32_e32 v1, 0x3e9e377a, v51
	v_add_f32_e32 v51, v33, v44
	v_add_f32_e32 v46, v46, v33
	;; [unrolled: 1-line block ×3, first 2 shown]
	v_lshrrev_b16 v48, 1, v50
	v_add_f32_e32 v56, v34, v42
	v_fma_f32 v50, -0.5, v51, v18
	v_add_f32_e32 v46, v46, v44
	v_sub_f32_e32 v33, v33, v34
	v_add_nc_u16 v34, v48, v45
	v_mul_u32_u24_sdwa v48, v37, v55 dst_sel:DWORD dst_unused:UNUSED_PAD src0_sel:WORD_0 src1_sel:DWORD
	v_fmac_f32_e32 v18, -0.5, v56
	v_fmamk_f32 v45, v40, 0xbf737871, v50
	v_add_f32_e32 v46, v46, v42
	v_sub_f32_e32 v42, v44, v42
	v_fmac_f32_e32 v50, 0x3f737871, v40
	v_lshrrev_b32_e32 v44, 16, v48
	v_fmac_f32_e32 v45, 0xbf167918, v35
	v_fmamk_f32 v48, v35, 0x3f737871, v18
	v_fmac_f32_e32 v18, 0xbf737871, v35
	v_fmac_f32_e32 v50, 0x3f167918, v35
	v_sub_nc_u16 v35, v37, v44
	v_mul_u32_u24_sdwa v51, v38, v55 dst_sel:DWORD dst_unused:UNUSED_PAD src0_sel:WORD_0 src1_sel:DWORD
	v_add_f32_e32 v33, v33, v42
	v_fmac_f32_e32 v48, 0xbf167918, v40
	v_fmac_f32_e32 v18, 0x3f167918, v40
	v_lshrrev_b16 v35, 1, v35
	v_lshrrev_b32_e32 v42, 16, v51
	v_fmac_f32_e32 v62, 0x3e9e377a, v64
	v_lshrrev_b16 v34, 6, v34
	v_fmac_f32_e32 v48, 0x3e9e377a, v33
	v_add_nc_u16 v35, v35, v44
	v_sub_nc_u16 v40, v38, v42
	v_fmac_f32_e32 v18, 0x3e9e377a, v33
	ds_write_b32 v85, v62 offset:400
	v_mul_lo_u16 v34, 0x7d, v34
	v_lshrrev_b16 v33, 6, v35
	v_lshrrev_b16 v35, 1, v40
	ds_write2_b32 v2, v17, v52 offset1:25
	ds_write2_b32 v2, v58, v1 offset0:50 offset1:75
	v_fmac_f32_e32 v45, 0x3e9e377a, v47
	v_mul_lo_u16 v1, 0x7d, v33
	v_add_nc_u16 v17, v35, v42
	v_sub_nc_u16 v34, v36, v34
	ds_write_b32 v2, v0 offset:400
	ds_write2_b32 v3, v46, v45 offset1:25
	ds_write2_b32 v3, v48, v18 offset0:50 offset1:75
	v_fmac_f32_e32 v50, 0x3e9e377a, v47
	v_sub_nc_u16 v0, v37, v1
	v_lshrrev_b16 v1, 6, v17
	v_and_b32_e32 v73, 0xffff, v34
	ds_write_b32 v3, v50 offset:400
	v_and_b32_e32 v18, 0xffff, v0
	v_mul_lo_u16 v0, 0x7d, v1
	v_lshlrev_b32_e32 v33, 5, v73
	s_waitcnt lgkmcnt(0)
	s_barrier
	buffer_gl0_inv
	v_sub_nc_u16 v0, v38, v0
	global_load_dwordx4 v[55:58], v33, s[8:9] offset:976
	v_lshlrev_b32_e32 v34, 5, v18
	v_mov_b32_e32 v1, 0
	v_and_b32_e32 v17, 0xffff, v0
	v_lshlrev_b32_e32 v0, 2, v10
	global_load_dwordx4 v[59:62], v34, s[8:9] offset:976
	v_lshlrev_b32_e32 v35, 5, v17
	v_lshlrev_b64 v[2:3], 3, v[0:1]
	global_load_dwordx4 v[63:66], v35, s[8:9] offset:976
	v_add_co_u32 v2, s0, s8, v2
	v_add_co_ci_u32_e64 v3, s0, s9, v3, s0
	s_clause 0x4
	global_load_dwordx4 v[85:88], v[2:3], off offset:976
	global_load_dwordx4 v[89:92], v33, s[8:9] offset:960
	global_load_dwordx4 v[93:96], v34, s[8:9] offset:960
	;; [unrolled: 1-line block ×3, first 2 shown]
	global_load_dwordx4 v[101:104], v[2:3], off offset:960
	ds_read_b32 v35, v41 offset:12000
	ds_read2_b32 v[33:34], v84 offset0:74 offset1:199
	ds_read2_b32 v[67:68], v82 offset0:62 offset1:187
	;; [unrolled: 1-line block ×4, first 2 shown]
	s_waitcnt vmcnt(7)
	v_mul_f32_e32 v0, v54, v58
	s_waitcnt lgkmcnt(3)
	v_mul_f32_e32 v44, v34, v56
	v_mul_f32_e32 v42, v35, v58
	;; [unrolled: 1-line block ×3, first 2 shown]
	v_fmac_f32_e32 v0, v35, v57
	v_fma_f32 v44, v32, v55, -v44
	s_waitcnt vmcnt(6)
	v_mul_f32_e32 v32, v33, v60
	v_mul_f32_e32 v45, v31, v60
	s_waitcnt lgkmcnt(2)
	v_mul_f32_e32 v35, v68, v62
	v_mul_f32_e32 v46, v30, v62
	v_fma_f32 v42, v54, v57, -v42
	v_fma_f32 v51, v31, v59, -v32
	v_fmac_f32_e32 v45, v33, v59
	v_fma_f32 v50, v30, v61, -v35
	s_waitcnt vmcnt(5)
	v_mul_f32_e32 v32, v67, v66
	s_waitcnt lgkmcnt(1)
	v_mul_f32_e32 v33, v70, v64
	ds_read2_b32 v[30:31], v78 offset0:86 offset1:211
	v_fmac_f32_e32 v40, v34, v55
	v_mul_f32_e32 v47, v29, v66
	v_mul_f32_e32 v48, v28, v64
	v_fma_f32 v58, v29, v65, -v32
	v_fma_f32 v57, v28, v63, -v33
	ds_read2_b32 v[28:29], v83 offset0:104 offset1:229
	s_waitcnt vmcnt(4) lgkmcnt(2)
	v_mul_f32_e32 v33, v71, v88
	v_mul_f32_e32 v34, v72, v88
	v_fmac_f32_e32 v46, v68, v61
	v_mul_f32_e32 v32, v69, v86
	v_mul_f32_e32 v66, v25, v88
	v_fma_f32 v68, v25, v87, -v33
	v_fma_f32 v25, v26, v87, -v34
	ds_read2_b32 v[34:35], v43 offset0:110 offset1:235
	v_mul_f32_e32 v61, v27, v86
	v_fma_f32 v27, v27, v85, -v32
	ds_read2_b32 v[32:33], v81 offset0:92 offset1:217
	v_fmac_f32_e32 v48, v70, v63
	v_mul_f32_e32 v63, v26, v88
	s_waitcnt lgkmcnt(3)
	v_mul_f32_e32 v26, v31, v86
	v_fmac_f32_e32 v61, v69, v85
	v_fmac_f32_e32 v66, v71, v87
	v_mul_f32_e32 v69, v22, v86
	s_waitcnt vmcnt(3)
	v_mul_f32_e32 v54, v30, v92
	v_fmac_f32_e32 v63, v72, v87
	v_fma_f32 v72, v22, v85, -v26
	ds_read2_b32 v[86:87], v77 offset0:98 offset1:223
	s_waitcnt vmcnt(2) lgkmcnt(3)
	v_mul_f32_e32 v22, v28, v94
	v_fmac_f32_e32 v47, v67, v65
	v_mul_f32_e32 v52, v21, v92
	v_fma_f32 v55, v21, v91, -v54
	v_mul_f32_e32 v21, v29, v90
	v_mul_f32_e32 v59, v23, v94
	v_fma_f32 v65, v23, v93, -v22
	s_waitcnt vmcnt(1) lgkmcnt(2)
	v_mul_f32_e32 v23, v35, v98
	v_mul_f32_e32 v64, v14, v98
	v_fma_f32 v56, v24, v89, -v21
	s_waitcnt lgkmcnt(1)
	v_mul_f32_e32 v21, v33, v96
	v_mul_f32_e32 v22, v32, v100
	v_fma_f32 v71, v14, v97, -v23
	s_waitcnt vmcnt(0)
	v_mul_f32_e32 v14, v34, v102
	v_mul_f32_e32 v62, v19, v100
	v_fma_f32 v67, v20, v95, -v21
	v_fma_f32 v70, v19, v99, -v22
	v_mul_f32_e32 v19, v13, v102
	v_fma_f32 v21, v13, v101, -v14
	ds_read2_b32 v[13:14], v49 offset0:116 offset1:241
	v_mul_f32_e32 v60, v20, v96
	s_waitcnt lgkmcnt(1)
	v_mul_f32_e32 v20, v87, v104
	v_mul_f32_e32 v22, v86, v104
	;; [unrolled: 1-line block ×3, first 2 shown]
	v_fmac_f32_e32 v19, v34, v101
	v_mul_f32_e32 v76, v15, v104
	v_fma_f32 v20, v16, v103, -v20
	v_fma_f32 v75, v15, v103, -v22
	v_sub_f32_e32 v22, v25, v27
	v_fmac_f32_e32 v74, v87, v103
	v_add_f32_e32 v15, v21, v25
	v_sub_f32_e32 v16, v21, v20
	v_add_f32_e32 v23, v20, v27
	v_fmac_f32_e32 v69, v31, v85
	v_mul_f32_e32 v54, v24, v90
	v_sub_f32_e32 v24, v19, v63
	v_add_f32_e32 v16, v16, v22
	v_fma_f32 v22, -0.5, v23, v12
	v_add_f32_e32 v23, v12, v21
	v_fmac_f32_e32 v12, -0.5, v15
	v_sub_f32_e32 v15, v74, v61
	s_waitcnt lgkmcnt(0)
	v_mul_f32_e32 v31, v14, v102
	v_mul_f32_e32 v85, v7, v102
	v_fmac_f32_e32 v52, v30, v91
	v_fmac_f32_e32 v54, v29, v89
	;; [unrolled: 1-line block ×3, first 2 shown]
	v_sub_f32_e32 v26, v20, v21
	v_sub_f32_e32 v28, v27, v25
	v_fmamk_f32 v29, v24, 0x3f737871, v22
	v_fmac_f32_e32 v22, 0xbf737871, v24
	v_fmamk_f32 v30, v15, 0xbf737871, v12
	v_fmac_f32_e32 v12, 0x3f737871, v15
	v_fmac_f32_e32 v76, v86, v103
	v_fma_f32 v86, v7, v101, -v31
	v_fmac_f32_e32 v85, v14, v101
	v_add_f32_e32 v7, v75, v72
	v_add_f32_e32 v26, v26, v28
	v_fmac_f32_e32 v22, 0xbf167918, v15
	v_fmac_f32_e32 v12, 0xbf167918, v24
	v_add_f32_e32 v14, v11, v86
	v_fma_f32 v7, -0.5, v7, v11
	v_sub_f32_e32 v28, v85, v66
	v_add_f32_e32 v31, v86, v68
	v_fmac_f32_e32 v22, 0x3e9e377a, v16
	v_fmac_f32_e32 v12, 0x3e9e377a, v26
	v_add_f32_e32 v14, v14, v75
	v_sub_f32_e32 v87, v86, v75
	v_sub_f32_e32 v88, v68, v72
	v_fmamk_f32 v89, v28, 0x3f737871, v7
	v_sub_f32_e32 v90, v76, v69
	v_fma_f32 v11, -0.5, v31, v11
	v_fmac_f32_e32 v60, v33, v95
	v_fmac_f32_e32 v62, v32, v99
	;; [unrolled: 1-line block ×3, first 2 shown]
	ds_read2_b32 v[34:35], v41 offset1:125
	ds_read2_b32 v[32:33], v79 offset0:122 offset1:247
	s_waitcnt lgkmcnt(0)
	s_barrier
	buffer_gl0_inv
	v_add_f32_e32 v14, v14, v72
	ds_write2_b32 v83, v12, v22 offset0:104 offset1:229
	v_add_f32_e32 v12, v87, v88
	v_fmac_f32_e32 v89, 0x3f167918, v90
	v_sub_f32_e32 v22, v75, v86
	v_sub_f32_e32 v31, v72, v68
	v_fmamk_f32 v87, v90, 0xbf737871, v11
	v_fmac_f32_e32 v11, 0x3f737871, v90
	v_fmac_f32_e32 v7, 0xbf737871, v28
	v_add_f32_e32 v23, v23, v20
	v_add_f32_e32 v14, v14, v68
	;; [unrolled: 1-line block ×3, first 2 shown]
	v_fmac_f32_e32 v87, 0x3f167918, v28
	v_fmac_f32_e32 v11, 0xbf167918, v28
	;; [unrolled: 1-line block ×3, first 2 shown]
	v_add_f32_e32 v23, v23, v27
	v_fmac_f32_e32 v89, 0x3e9e377a, v12
	v_fmac_f32_e32 v87, 0x3e9e377a, v22
	;; [unrolled: 1-line block ×4, first 2 shown]
	v_add_f32_e32 v12, v23, v25
	ds_write2_b32 v41, v14, v89 offset1:125
	v_add_f32_e32 v14, v55, v44
	ds_write2_b32 v79, v87, v11 offset0:122 offset1:247
	v_add_f32_e32 v11, v56, v42
	ds_write2_b32 v49, v7, v12 offset0:116 offset1:241
	v_fmac_f32_e32 v29, 0x3f167918, v15
	v_fma_f32 v7, -0.5, v14, v6
	v_sub_f32_e32 v14, v55, v56
	v_sub_f32_e32 v15, v44, v42
	v_add_f32_e32 v12, v6, v56
	v_fmac_f32_e32 v6, -0.5, v11
	v_sub_f32_e32 v11, v52, v40
	v_fmac_f32_e32 v30, 0x3f167918, v24
	v_add_f32_e32 v14, v14, v15
	v_add_f32_e32 v15, v67, v51
	;; [unrolled: 1-line block ×3, first 2 shown]
	v_fmac_f32_e32 v29, 0x3e9e377a, v16
	v_fmamk_f32 v16, v11, 0xbf737871, v6
	v_sub_f32_e32 v22, v54, v0
	v_fmac_f32_e32 v30, 0x3e9e377a, v26
	v_fmac_f32_e32 v6, 0x3f737871, v11
	v_fma_f32 v15, -0.5, v15, v5
	v_add_f32_e32 v24, v5, v65
	v_fmac_f32_e32 v5, -0.5, v23
	v_sub_f32_e32 v23, v60, v45
	v_fmac_f32_e32 v16, 0x3f167918, v22
	ds_write2_b32 v43, v29, v30 offset0:110 offset1:235
	v_fmac_f32_e32 v6, 0xbf167918, v22
	v_lshl_add_u32 v87, v73, 2, 0
	v_sub_f32_e32 v26, v67, v65
	v_sub_f32_e32 v28, v51, v50
	v_fmamk_f32 v29, v23, 0xbf737871, v5
	v_sub_f32_e32 v30, v59, v46
	v_fmac_f32_e32 v5, 0x3f737871, v23
	v_fmac_f32_e32 v16, 0x3e9e377a, v14
	;; [unrolled: 1-line block ×3, first 2 shown]
	v_add_nc_u32_e32 v88, 0x2a00, v87
	v_add_f32_e32 v14, v26, v28
	v_fmac_f32_e32 v29, 0x3f167918, v30
	v_fmac_f32_e32 v5, 0xbf167918, v30
	v_add_f32_e32 v26, v70, v57
	v_lshl_add_u32 v89, v18, 2, 0
	v_add_f32_e32 v18, v71, v58
	ds_write2_b32 v88, v16, v6 offset0:62 offset1:187
	v_fmac_f32_e32 v29, 0x3e9e377a, v14
	v_fmac_f32_e32 v5, 0x3e9e377a, v14
	v_fma_f32 v6, -0.5, v26, v4
	v_add_f32_e32 v14, v4, v71
	v_sub_f32_e32 v26, v71, v70
	v_sub_f32_e32 v28, v58, v57
	;; [unrolled: 1-line block ×3, first 2 shown]
	v_fma_f32 v4, -0.5, v18, v4
	v_sub_f32_e32 v16, v64, v47
	v_lshl_add_u32 v91, v17, 2, 0
	v_add_f32_e32 v18, v26, v28
	v_sub_f32_e32 v17, v70, v71
	v_sub_f32_e32 v26, v57, v58
	v_fmamk_f32 v28, v73, 0xbf737871, v4
	v_fmac_f32_e32 v4, 0x3f737871, v73
	v_sub_f32_e32 v92, v50, v51
	v_add_f32_e32 v14, v14, v70
	v_add_f32_e32 v17, v17, v26
	v_fmac_f32_e32 v28, 0x3f167918, v16
	v_fmac_f32_e32 v4, 0xbf167918, v16
	v_sub_f32_e32 v26, v65, v67
	v_fmamk_f32 v31, v16, 0x3f737871, v6
	v_add_f32_e32 v24, v24, v67
	v_fmac_f32_e32 v28, 0x3e9e377a, v17
	v_fmac_f32_e32 v4, 0x3e9e377a, v17
	v_add_f32_e32 v17, v26, v92
	v_fmamk_f32 v26, v30, 0x3f737871, v15
	v_sub_f32_e32 v92, v56, v55
	v_sub_f32_e32 v95, v42, v44
	v_add_f32_e32 v12, v12, v55
	v_fmamk_f32 v96, v22, 0x3f737871, v7
	v_add_f32_e32 v14, v14, v57
	v_fmac_f32_e32 v31, 0x3f167918, v73
	v_add_f32_e32 v24, v24, v51
	v_fmac_f32_e32 v26, 0x3f167918, v23
	v_add_f32_e32 v92, v92, v95
	v_add_f32_e32 v12, v12, v44
	v_fmac_f32_e32 v96, 0x3f167918, v11
	v_add_nc_u32_e32 v90, 0x2000, v89
	v_add_f32_e32 v14, v14, v58
	v_fmac_f32_e32 v31, 0x3e9e377a, v18
	v_add_nc_u32_e32 v93, 0x1200, v91
	v_add_nc_u32_e32 v94, 0x1600, v91
	v_add_f32_e32 v24, v24, v50
	v_fmac_f32_e32 v26, 0x3e9e377a, v17
	v_add_nc_u32_e32 v95, 0x1c00, v89
	v_add_f32_e32 v12, v12, v42
	v_fmac_f32_e32 v96, 0x3e9e377a, v92
	v_add_nc_u32_e32 v97, 0x2600, v87
	ds_write2_b32 v90, v29, v5 offset0:77 offset1:202
	ds_write2_b32 v93, v14, v31 offset0:98 offset1:223
	;; [unrolled: 1-line block ×5, first 2 shown]
	v_sub_f32_e32 v4, v19, v74
	v_sub_f32_e32 v5, v63, v61
	;; [unrolled: 1-line block ×4, first 2 shown]
	v_fmac_f32_e32 v7, 0xbf737871, v22
	v_add_f32_e32 v101, v35, v19
	v_add_f32_e32 v99, v4, v5
	;; [unrolled: 1-line block ×4, first 2 shown]
	v_fmac_f32_e32 v6, 0xbf737871, v16
	v_fmac_f32_e32 v7, 0xbf167918, v11
	;; [unrolled: 1-line block ×3, first 2 shown]
	v_fma_f32 v100, -0.5, v4, v35
	v_fmac_f32_e32 v35, -0.5, v5
	v_sub_f32_e32 v4, v74, v19
	v_sub_f32_e32 v5, v61, v63
	v_fmac_f32_e32 v6, 0xbf167918, v73
	v_fmamk_f32 v102, v96, 0xbf737871, v100
	v_fmac_f32_e32 v100, 0x3f737871, v96
	v_fmamk_f32 v103, v98, 0x3f737871, v35
	v_fmac_f32_e32 v35, 0xbf737871, v98
	v_fmac_f32_e32 v7, 0x3e9e377a, v92
	v_add_f32_e32 v92, v4, v5
	v_fmac_f32_e32 v100, 0x3f167918, v98
	v_fmac_f32_e32 v15, 0xbf167918, v23
	;; [unrolled: 1-line block ×4, first 2 shown]
	v_add_f32_e32 v105, v34, v85
	v_fmac_f32_e32 v100, 0x3e9e377a, v99
	v_fmac_f32_e32 v15, 0x3e9e377a, v17
	;; [unrolled: 1-line block ×3, first 2 shown]
	ds_write_b32 v91, v6 offset:7000
	ds_write_b32 v89, v15 offset:9500
	;; [unrolled: 1-line block ×3, first 2 shown]
	s_waitcnt lgkmcnt(0)
	s_barrier
	buffer_gl0_inv
	ds_read_b32 v73, v41 offset:12000
	ds_read2_b32 v[4:5], v41 offset1:125
	ds_read2_b32 v[24:25], v49 offset0:116 offset1:241
	ds_read2_b32 v[16:17], v77 offset0:98 offset1:223
	;; [unrolled: 1-line block ×11, first 2 shown]
	s_waitcnt lgkmcnt(0)
	v_add_f32_e32 v104, v76, v69
	s_barrier
	buffer_gl0_inv
	ds_write2_b32 v83, v35, v100 offset0:104 offset1:229
	v_add_f32_e32 v100, v85, v66
	v_sub_f32_e32 v68, v86, v68
	v_add_f32_e32 v86, v105, v76
	v_fma_f32 v35, -0.5, v104, v34
	v_sub_f32_e32 v72, v75, v72
	v_fma_f32 v34, -0.5, v100, v34
	v_sub_f32_e32 v75, v85, v76
	v_add_f32_e32 v86, v86, v69
	v_sub_f32_e32 v104, v66, v69
	v_fmamk_f32 v105, v68, 0xbf737871, v35
	v_sub_f32_e32 v76, v76, v85
	v_fmac_f32_e32 v35, 0x3f737871, v68
	v_add_f32_e32 v86, v86, v66
	v_sub_f32_e32 v66, v69, v66
	v_fmamk_f32 v69, v72, 0x3f737871, v34
	v_fmac_f32_e32 v34, 0xbf737871, v72
	v_add_f32_e32 v74, v101, v74
	v_add_f32_e32 v75, v75, v104
	;; [unrolled: 1-line block ×3, first 2 shown]
	v_fmac_f32_e32 v69, 0xbf167918, v68
	v_fmac_f32_e32 v34, 0x3f167918, v68
	;; [unrolled: 1-line block ×3, first 2 shown]
	v_add_f32_e32 v61, v74, v61
	v_sub_f32_e32 v58, v71, v58
	v_fmac_f32_e32 v69, 0x3e9e377a, v66
	v_fmac_f32_e32 v34, 0x3e9e377a, v66
	;; [unrolled: 1-line block ×3, first 2 shown]
	v_add_f32_e32 v61, v61, v63
	v_sub_f32_e32 v63, v47, v48
	v_add_f32_e32 v68, v59, v46
	ds_write2_b32 v79, v69, v34 offset0:122 offset1:247
	v_add_f32_e32 v34, v62, v48
	ds_write2_b32 v49, v35, v61 offset0:116 offset1:241
	v_sub_f32_e32 v61, v64, v62
	v_add_f32_e32 v35, v32, v64
	v_sub_f32_e32 v57, v70, v57
	v_fma_f32 v34, -0.5, v34, v32
	v_sub_f32_e32 v51, v67, v51
	v_add_f32_e32 v61, v61, v63
	v_add_f32_e32 v63, v60, v45
	;; [unrolled: 1-line block ×3, first 2 shown]
	v_fmamk_f32 v66, v58, 0xbf737871, v34
	v_add_f32_e32 v67, v33, v59
	v_sub_f32_e32 v69, v45, v46
	v_fma_f32 v63, -0.5, v63, v33
	v_fmac_f32_e32 v33, -0.5, v68
	v_sub_f32_e32 v68, v60, v59
	v_fmac_f32_e32 v105, 0xbf167918, v72
	v_fmac_f32_e32 v102, 0xbf167918, v98
	v_fmac_f32_e32 v103, 0xbf167918, v96
	v_add_f32_e32 v35, v35, v48
	v_fmac_f32_e32 v66, 0xbf167918, v57
	v_add_f32_e32 v68, v68, v69
	v_add_f32_e32 v69, v64, v47
	v_fmac_f32_e32 v105, 0x3e9e377a, v75
	v_fmac_f32_e32 v102, 0x3e9e377a, v99
	;; [unrolled: 1-line block ×3, first 2 shown]
	v_add_f32_e32 v35, v35, v47
	v_fmac_f32_e32 v66, 0x3e9e377a, v61
	v_sub_f32_e32 v62, v62, v64
	v_sub_f32_e32 v47, v48, v47
	v_fma_f32 v32, -0.5, v69, v32
	v_sub_f32_e32 v50, v65, v50
	v_fmamk_f32 v65, v51, 0x3f737871, v33
	v_fmac_f32_e32 v33, 0xbf737871, v51
	ds_write2_b32 v41, v86, v105 offset1:125
	ds_write2_b32 v43, v102, v103 offset0:110 offset1:235
	ds_write2_b32 v93, v35, v66 offset0:98 offset1:223
	v_add_f32_e32 v35, v62, v47
	v_fmamk_f32 v47, v57, 0x3f737871, v32
	v_fmac_f32_e32 v32, 0xbf737871, v57
	v_add_f32_e32 v48, v67, v60
	v_sub_f32_e32 v59, v59, v60
	v_sub_f32_e32 v60, v46, v45
	v_fmamk_f32 v62, v50, 0xbf737871, v63
	v_fmac_f32_e32 v65, 0xbf167918, v50
	v_fmac_f32_e32 v33, 0x3f167918, v50
	;; [unrolled: 1-line block ×4, first 2 shown]
	v_add_f32_e32 v45, v48, v45
	v_add_f32_e32 v48, v59, v60
	v_fmac_f32_e32 v62, 0xbf167918, v51
	v_fmac_f32_e32 v65, 0x3e9e377a, v68
	;; [unrolled: 1-line block ×5, first 2 shown]
	v_add_f32_e32 v35, v45, v46
	v_fmac_f32_e32 v62, 0x3e9e377a, v48
	ds_write2_b32 v90, v65, v33 offset0:77 offset1:202
	ds_write2_b32 v94, v47, v32 offset0:92 offset1:217
	;; [unrolled: 1-line block ×3, first 2 shown]
	v_add_f32_e32 v32, v52, v40
	v_add_f32_e32 v33, v54, v0
	;; [unrolled: 1-line block ×3, first 2 shown]
	v_sub_f32_e32 v42, v56, v42
	v_sub_f32_e32 v44, v55, v44
	v_fma_f32 v32, -0.5, v32, v13
	v_fmac_f32_e32 v13, -0.5, v33
	v_add_f32_e32 v33, v35, v52
	v_sub_f32_e32 v35, v54, v52
	v_sub_f32_e32 v45, v0, v40
	v_fmac_f32_e32 v34, 0x3f737871, v58
	v_fmac_f32_e32 v63, 0x3f737871, v50
	v_fmamk_f32 v47, v42, 0xbf737871, v32
	v_sub_f32_e32 v46, v52, v54
	v_add_f32_e32 v33, v33, v40
	v_sub_f32_e32 v40, v40, v0
	v_add_f32_e32 v35, v35, v45
	v_fmamk_f32 v45, v44, 0x3f737871, v13
	v_fmac_f32_e32 v13, 0xbf737871, v44
	v_fmac_f32_e32 v32, 0x3f737871, v42
	;; [unrolled: 1-line block ×5, first 2 shown]
	v_add_f32_e32 v40, v46, v40
	v_fmac_f32_e32 v45, 0xbf167918, v42
	v_fmac_f32_e32 v13, 0x3f167918, v42
	;; [unrolled: 1-line block ×5, first 2 shown]
	v_add_f32_e32 v0, v33, v0
	v_fmac_f32_e32 v47, 0x3e9e377a, v35
	v_fmac_f32_e32 v45, 0x3e9e377a, v40
	;; [unrolled: 1-line block ×4, first 2 shown]
	ds_write_b32 v91, v34 offset:7000
	ds_write_b32 v89, v63 offset:9500
	ds_write2_b32 v97, v0, v47 offset0:68 offset1:193
	ds_write2_b32 v88, v45, v13 offset0:62 offset1:187
	ds_write_b32 v87, v32 offset:12000
	s_waitcnt lgkmcnt(0)
	s_barrier
	buffer_gl0_inv
	s_and_saveexec_b32 s0, vcc_lo
	s_cbranch_execz .LBB0_13
; %bb.12:
	v_lshlrev_b32_e32 v0, 2, v36
	v_add_co_u32 v32, vcc_lo, 0x1000, v2
	v_add_co_ci_u32_e32 v33, vcc_lo, 0, v3, vcc_lo
	v_lshlrev_b64 v[44:45], 3, v[0:1]
	v_add_co_u32 v2, vcc_lo, 0x1360, v2
	v_add_co_ci_u32_e32 v3, vcc_lo, 0, v3, vcc_lo
	v_lshlrev_b32_e32 v0, 2, v37
	v_add_co_u32 v13, vcc_lo, s8, v44
	v_add_co_ci_u32_e32 v40, vcc_lo, s9, v45, vcc_lo
	s_clause 0x1
	global_load_dwordx4 v[32:35], v[32:33], off offset:864
	global_load_dwordx4 v[44:47], v[2:3], off offset:16
	v_add_co_u32 v2, vcc_lo, 0x1000, v13
	v_lshlrev_b64 v[62:63], 3, v[0:1]
	v_add_co_ci_u32_e32 v3, vcc_lo, 0, v40, vcc_lo
	v_add_co_u32 v50, vcc_lo, 0x1360, v13
	v_add_co_ci_u32_e32 v51, vcc_lo, 0, v40, vcc_lo
	v_add_co_u32 v0, vcc_lo, s8, v62
	v_add_co_ci_u32_e32 v13, vcc_lo, s9, v63, vcc_lo
	s_clause 0x1
	global_load_dwordx4 v[54:57], v[2:3], off offset:864
	global_load_dwordx4 v[58:61], v[50:51], off offset:16
	v_add_co_u32 v2, vcc_lo, 0x1000, v0
	v_add_co_ci_u32_e32 v3, vcc_lo, 0, v13, vcc_lo
	v_add_co_u32 v50, vcc_lo, 0x1360, v0
	v_lshlrev_b32_e32 v0, 2, v38
	v_add_co_ci_u32_e32 v51, vcc_lo, 0, v13, vcc_lo
	s_clause 0x1
	global_load_dwordx4 v[62:65], v[2:3], off offset:864
	global_load_dwordx4 v[66:69], v[50:51], off offset:16
	v_lshlrev_b64 v[2:3], 3, v[0:1]
	v_add_co_u32 v0, vcc_lo, s8, v2
	v_add_co_ci_u32_e32 v13, vcc_lo, s9, v3, vcc_lo
	v_add_co_u32 v2, vcc_lo, 0x1000, v0
	v_add_co_ci_u32_e32 v3, vcc_lo, 0, v13, vcc_lo
	v_add_co_u32 v37, vcc_lo, 0x1360, v0
	v_lshlrev_b32_e32 v0, 2, v39
	v_add_co_ci_u32_e32 v38, vcc_lo, 0, v13, vcc_lo
	s_clause 0x1
	global_load_dwordx4 v[85:88], v[2:3], off offset:864
	global_load_dwordx4 v[89:92], v[37:38], off offset:16
	v_lshlrev_b64 v[2:3], 3, v[0:1]
	v_add_co_u32 v0, vcc_lo, s8, v2
	v_add_co_ci_u32_e32 v13, vcc_lo, s9, v3, vcc_lo
	v_add_co_u32 v2, vcc_lo, 0x1000, v0
	v_add_co_ci_u32_e32 v3, vcc_lo, 0, v13, vcc_lo
	;; [unrolled: 2-line block ×3, first 2 shown]
	s_clause 0x1
	global_load_dwordx4 v[37:40], v[2:3], off offset:864
	global_load_dwordx4 v[93:96], v[50:51], off offset:16
	ds_read2_b32 v[50:51], v77 offset0:98 offset1:223
	ds_read2_b32 v[2:3], v49 offset0:116 offset1:241
	;; [unrolled: 1-line block ×6, first 2 shown]
	ds_read_b32 v0, v41 offset:12000
	ds_read2_b32 v[80:81], v81 offset0:92 offset1:217
	ds_read2_b32 v[82:83], v82 offset0:62 offset1:187
	ds_read2_b32 v[78:79], v79 offset0:122 offset1:247
	ds_read2_b32 v[42:43], v43 offset0:110 offset1:235
	ds_read2_b32 v[52:53], v53 offset0:80 offset1:205
	ds_read2_b32 v[97:98], v41 offset1:125
	s_waitcnt vmcnt(9) lgkmcnt(12)
	v_mul_f32_e32 v72, v34, v50
	s_waitcnt lgkmcnt(11)
	v_mul_f32_e32 v84, v32, v3
	s_waitcnt vmcnt(8) lgkmcnt(10)
	v_mul_f32_e32 v99, v44, v49
	v_mul_f32_e32 v3, v33, v3
	;; [unrolled: 1-line block ×4, first 2 shown]
	s_waitcnt lgkmcnt(9)
	v_mul_f32_e32 v100, v46, v70
	v_fmac_f32_e32 v72, v16, v35
	v_fmac_f32_e32 v84, v25, v33
	;; [unrolled: 1-line block ×3, first 2 shown]
	v_fma_f32 v101, v25, v32, -v3
	v_fma_f32 v102, v16, v34, -v13
	v_fma_f32 v103, v31, v44, -v41
	v_mul_f32_e32 v70, v47, v70
	s_waitcnt vmcnt(7)
	v_mul_f32_e32 v13, v56, v48
	s_waitcnt lgkmcnt(8)
	v_mul_f32_e32 v3, v54, v75
	s_waitcnt vmcnt(6) lgkmcnt(7)
	v_mul_f32_e32 v31, v58, v77
	s_waitcnt lgkmcnt(6)
	v_mul_f32_e32 v32, v60, v0
	v_mul_f32_e32 v16, v55, v75
	;; [unrolled: 1-line block ×5, first 2 shown]
	v_fmac_f32_e32 v100, v6, v47
	v_fmac_f32_e32 v13, v30, v57
	;; [unrolled: 1-line block ×5, first 2 shown]
	v_fma_f32 v16, v27, v54, -v16
	v_fma_f32 v0, v73, v60, -v0
	;; [unrolled: 1-line block ×4, first 2 shown]
	s_waitcnt vmcnt(5) lgkmcnt(5)
	v_mul_f32_e32 v30, v64, v81
	v_mul_f32_e32 v33, v62, v74
	s_waitcnt vmcnt(4)
	v_mul_f32_e32 v34, v66, v76
	s_waitcnt lgkmcnt(4)
	v_mul_f32_e32 v35, v68, v83
	v_mul_f32_e32 v25, v63, v74
	;; [unrolled: 1-line block ×5, first 2 shown]
	v_sub_f32_e32 v48, v13, v3
	v_sub_f32_e32 v49, v31, v32
	;; [unrolled: 1-line block ×3, first 2 shown]
	v_add_f32_e32 v54, v3, v32
	v_sub_f32_e32 v56, v3, v13
	v_sub_f32_e32 v57, v32, v31
	v_add_f32_e32 v58, v13, v31
	v_fmac_f32_e32 v34, v28, v67
	v_fma_f32 v47, v28, v66, -v47
	v_add_f32_e32 v28, v3, v2
	v_sub_f32_e32 v59, v27, v16
	v_fmac_f32_e32 v35, v21, v69
	v_fma_f32 v41, v21, v68, -v41
	v_sub_f32_e32 v21, v29, v0
	v_add_f32_e32 v60, v16, v0
	v_sub_f32_e32 v67, v16, v27
	v_fmac_f32_e32 v33, v26, v63
	v_fma_f32 v26, v26, v62, -v25
	v_sub_f32_e32 v62, v0, v29
	v_add_f32_e32 v63, v27, v29
	v_add_f32_e32 v16, v24, v16
	v_fmac_f32_e32 v30, v23, v65
	v_fma_f32 v23, v23, v64, -v44
	s_waitcnt vmcnt(3)
	v_mul_f32_e32 v44, v87, v80
	s_waitcnt lgkmcnt(2)
	v_mul_f32_e32 v64, v85, v43
	s_waitcnt vmcnt(2) lgkmcnt(1)
	v_mul_f32_e32 v65, v89, v53
	v_mul_f32_e32 v68, v91, v82
	;; [unrolled: 1-line block ×6, first 2 shown]
	v_sub_f32_e32 v55, v27, v29
	v_sub_f32_e32 v61, v13, v31
	;; [unrolled: 1-line block ×3, first 2 shown]
	v_add_f32_e32 v48, v48, v49
	v_fma_f32 v3, -0.5, v54, v2
	v_add_f32_e32 v49, v56, v57
	v_fma_f32 v25, -0.5, v58, v2
	v_add_f32_e32 v13, v13, v28
	v_add_f32_e32 v54, v59, v21
	v_fma_f32 v2, -0.5, v60, v24
	v_add_f32_e32 v56, v67, v62
	v_fma_f32 v24, -0.5, v63, v24
	v_add_f32_e32 v21, v27, v16
	v_sub_f32_e32 v27, v30, v33
	v_sub_f32_e32 v28, v34, v35
	;; [unrolled: 1-line block ×3, first 2 shown]
	v_add_f32_e32 v58, v33, v35
	v_sub_f32_e32 v60, v33, v30
	v_sub_f32_e32 v62, v35, v34
	v_add_f32_e32 v63, v30, v34
	v_add_f32_e32 v67, v33, v79
	v_sub_f32_e32 v74, v23, v26
	v_fmac_f32_e32 v44, v22, v88
	v_fma_f32 v73, v22, v87, -v73
	v_add_f32_e32 v76, v26, v41
	v_fmac_f32_e32 v64, v19, v86
	v_fma_f32 v43, v19, v85, -v43
	v_sub_f32_e32 v80, v33, v35
	v_sub_f32_e32 v33, v26, v23
	;; [unrolled: 1-line block ×3, first 2 shown]
	v_add_f32_e32 v82, v23, v47
	v_add_f32_e32 v26, v12, v26
	v_fmac_f32_e32 v65, v15, v90
	v_fmac_f32_e32 v68, v20, v92
	v_fma_f32 v69, v20, v91, -v69
	v_fma_f32 v53, v15, v89, -v53
	s_waitcnt vmcnt(1)
	v_mul_f32_e32 v83, v39, v51
	v_mul_f32_e32 v85, v37, v42
	s_waitcnt vmcnt(0)
	v_mul_f32_e32 v86, v93, v52
	v_mul_f32_e32 v87, v95, v71
	;; [unrolled: 1-line block ×4, first 2 shown]
	v_sub_f32_e32 v59, v23, v47
	v_sub_f32_e32 v75, v47, v41
	;; [unrolled: 1-line block ×3, first 2 shown]
	v_mul_f32_e32 v71, v96, v71
	v_mul_f32_e32 v52, v94, v52
	v_add_f32_e32 v31, v31, v13
	v_add_f32_e32 v29, v21, v29
	;; [unrolled: 1-line block ×3, first 2 shown]
	v_fma_f32 v22, -0.5, v58, v79
	v_add_f32_e32 v58, v60, v62
	v_fma_f32 v13, -0.5, v63, v79
	v_add_f32_e32 v28, v30, v67
	;; [unrolled: 2-line block ×4, first 2 shown]
	v_sub_f32_e32 v30, v44, v64
	v_sub_f32_e32 v33, v65, v68
	;; [unrolled: 1-line block ×4, first 2 shown]
	v_fmac_f32_e32 v85, v18, v38
	v_fma_f32 v37, v18, v37, -v42
	v_add_f32_e32 v42, v43, v69
	v_fmac_f32_e32 v83, v17, v40
	v_fma_f32 v89, v17, v39, -v51
	v_sub_f32_e32 v39, v43, v73
	v_add_f32_e32 v90, v73, v53
	v_add_f32_e32 v43, v11, v43
	v_fmac_f32_e32 v86, v14, v94
	v_fmac_f32_e32 v87, v7, v96
	v_fmamk_f32 v16, v55, 0xbf737871, v3
	v_fmac_f32_e32 v3, 0x3f737871, v55
	v_fmamk_f32 v20, v50, 0x3f737871, v25
	v_fmac_f32_e32 v25, 0xbf737871, v50
	v_add_f32_e32 v60, v74, v75
	v_add_f32_e32 v67, v64, v68
	v_sub_f32_e32 v75, v64, v44
	v_sub_f32_e32 v76, v68, v65
	v_add_f32_e32 v81, v64, v78
	v_fma_f32 v71, v7, v95, -v71
	v_fma_f32 v14, v14, v93, -v52
	v_add_f32_e32 v18, v32, v31
	v_add_f32_e32 v7, v23, v47
	;; [unrolled: 1-line block ×3, first 2 shown]
	v_fma_f32 v30, -0.5, v42, v11
	v_fma_f32 v32, -0.5, v90, v11
	v_add_f32_e32 v11, v73, v43
	v_sub_f32_e32 v42, v83, v85
	v_sub_f32_e32 v43, v86, v87
	v_add_f32_e32 v47, v85, v87
	v_fmamk_f32 v19, v66, 0xbf737871, v24
	v_fmac_f32_e32 v24, 0x3f737871, v66
	v_sub_f32_e32 v74, v73, v53
	v_add_f32_e32 v79, v44, v65
	v_sub_f32_e32 v38, v53, v69
	v_sub_f32_e32 v51, v44, v65
	v_fmac_f32_e32 v16, 0x3f167918, v50
	v_fmac_f32_e32 v3, 0xbf167918, v50
	v_fmac_f32_e32 v20, 0x3f167918, v55
	v_fmac_f32_e32 v25, 0xbf167918, v55
	v_add_f32_e32 v17, v29, v0
	v_add_f32_e32 v0, v34, v28
	v_fma_f32 v31, -0.5, v67, v78
	v_add_f32_e32 v55, v75, v76
	v_add_f32_e32 v44, v44, v81
	v_sub_f32_e32 v73, v89, v14
	v_sub_f32_e32 v50, v85, v83
	;; [unrolled: 1-line block ×3, first 2 shown]
	v_add_f32_e32 v75, v83, v86
	s_waitcnt lgkmcnt(0)
	v_add_f32_e32 v76, v85, v98
	v_add_f32_e32 v81, v37, v71
	;; [unrolled: 1-line block ×5, first 2 shown]
	v_fma_f32 v42, -0.5, v47, v98
	v_fmamk_f32 v15, v61, 0x3f737871, v2
	v_fmac_f32_e32 v2, 0xbf737871, v61
	v_sub_f32_e32 v64, v64, v68
	v_sub_f32_e32 v40, v69, v53
	v_fmac_f32_e32 v19, 0xbf167918, v61
	v_fmac_f32_e32 v24, 0x3f167918, v61
	v_add_f32_e32 v61, v82, v38
	v_sub_f32_e32 v67, v37, v71
	v_sub_f32_e32 v82, v83, v86
	v_add_f32_e32 v92, v89, v14
	v_fmac_f32_e32 v20, 0x3e9e377a, v49
	v_fmac_f32_e32 v25, 0x3e9e377a, v49
	v_add_f32_e32 v35, v35, v0
	v_fmamk_f32 v38, v74, 0xbf737871, v31
	v_fmac_f32_e32 v31, 0x3f737871, v74
	v_add_f32_e32 v0, v65, v44
	v_add_f32_e32 v53, v50, v52
	v_fma_f32 v44, -0.5, v75, v98
	v_add_f32_e32 v49, v83, v76
	v_fma_f32 v41, -0.5, v81, v5
	v_fmamk_f32 v50, v73, 0xbf737871, v42
	v_fmac_f32_e32 v42, 0x3f737871, v73
	v_add_f32_e32 v45, v84, v100
	v_fmac_f32_e32 v15, 0xbf167918, v66
	v_fmac_f32_e32 v2, 0x3f167918, v66
	v_fma_f32 v33, -0.5, v79, v78
	v_add_f32_e32 v66, v39, v40
	v_sub_f32_e32 v78, v89, v37
	v_sub_f32_e32 v79, v14, v71
	v_sub_f32_e32 v85, v85, v87
	v_add_f32_e32 v93, v5, v37
	v_fmac_f32_e32 v16, 0x3e9e377a, v48
	v_fmac_f32_e32 v3, 0x3e9e377a, v48
	v_fmamk_f32 v39, v64, 0xbf737871, v32
	v_fmac_f32_e32 v32, 0x3f737871, v64
	v_fma_f32 v43, -0.5, v92, v5
	v_fmac_f32_e32 v38, 0x3f167918, v63
	v_fmac_f32_e32 v31, 0xbf167918, v63
	v_add_f32_e32 v48, v68, v0
	v_fmamk_f32 v52, v67, 0x3f737871, v44
	v_fmac_f32_e32 v44, 0xbf737871, v67
	v_add_f32_e32 v0, v86, v49
	v_fmamk_f32 v49, v82, 0x3f737871, v41
	v_fmac_f32_e32 v41, 0xbf737871, v82
	v_fmac_f32_e32 v50, 0x3f167918, v67
	;; [unrolled: 1-line block ×3, first 2 shown]
	v_sub_f32_e32 v90, v37, v89
	v_sub_f32_e32 v91, v71, v14
	v_fmac_f32_e32 v15, 0x3e9e377a, v54
	v_fmac_f32_e32 v2, 0x3e9e377a, v54
	v_fmamk_f32 v37, v51, 0x3f737871, v30
	v_fmac_f32_e32 v30, 0xbf737871, v51
	v_add_f32_e32 v54, v78, v79
	v_fmac_f32_e32 v39, 0xbf167918, v51
	v_fmac_f32_e32 v32, 0x3f167918, v51
	v_add_f32_e32 v47, v7, v69
	v_fmamk_f32 v51, v85, 0xbf737871, v43
	v_fmac_f32_e32 v43, 0x3f737871, v85
	v_fmac_f32_e32 v38, 0x3e9e377a, v23
	;; [unrolled: 1-line block ×5, first 2 shown]
	v_add_f32_e32 v7, v87, v0
	v_fmac_f32_e32 v49, 0xbf167918, v85
	v_fmac_f32_e32 v41, 0x3f167918, v85
	;; [unrolled: 1-line block ×4, first 2 shown]
	v_fma_f32 v0, v6, v46, -v70
	v_fma_f32 v46, -0.5, v45, v97
	v_sub_f32_e32 v5, v102, v103
	v_add_f32_e32 v6, v89, v93
	v_sub_f32_e32 v11, v72, v84
	v_sub_f32_e32 v23, v99, v100
	v_fmamk_f32 v29, v57, 0x3f737871, v13
	v_fmac_f32_e32 v13, 0xbf737871, v57
	v_fmac_f32_e32 v19, 0x3e9e377a, v56
	v_fmac_f32_e32 v24, 0x3e9e377a, v56
	v_add_f32_e32 v56, v90, v91
	v_fmac_f32_e32 v51, 0xbf167918, v82
	v_fmac_f32_e32 v43, 0x3f167918, v82
	;; [unrolled: 1-line block ×6, first 2 shown]
	v_sub_f32_e32 v45, v101, v0
	v_fmamk_f32 v54, v5, 0xbf737871, v46
	v_add_f32_e32 v53, v72, v99
	v_add_f32_e32 v6, v6, v14
	;; [unrolled: 1-line block ×3, first 2 shown]
	v_fmac_f32_e32 v46, 0x3f737871, v5
	v_sub_f32_e32 v14, v84, v72
	v_sub_f32_e32 v23, v100, v99
	v_fmac_f32_e32 v29, 0x3f167918, v59
	v_fmac_f32_e32 v13, 0xbf167918, v59
	v_fmamk_f32 v40, v63, 0x3f737871, v33
	v_fmac_f32_e32 v33, 0xbf737871, v63
	v_fmac_f32_e32 v51, 0x3e9e377a, v56
	;; [unrolled: 1-line block ×4, first 2 shown]
	v_fma_f32 v56, -0.5, v53, v97
	v_fmac_f32_e32 v46, 0xbf167918, v45
	v_add_f32_e32 v14, v14, v23
	v_add_f32_e32 v23, v84, v97
	v_fmamk_f32 v27, v59, 0xbf737871, v22
	v_fmac_f32_e32 v22, 0x3f737871, v59
	v_fmamk_f32 v26, v77, 0x3f737871, v21
	v_fmac_f32_e32 v21, 0xbf737871, v77
	v_fmac_f32_e32 v29, 0x3e9e377a, v58
	v_fmac_f32_e32 v13, 0x3e9e377a, v58
	v_fmac_f32_e32 v40, 0x3f167918, v74
	v_fmac_f32_e32 v33, 0xbf167918, v74
	v_fmamk_f32 v58, v45, 0x3f737871, v56
	v_fmac_f32_e32 v54, 0x3e9e377a, v11
	v_add_f32_e32 v53, v101, v0
	v_fmac_f32_e32 v46, 0x3e9e377a, v11
	v_fmac_f32_e32 v56, 0xbf737871, v45
	v_add_f32_e32 v11, v72, v23
	v_fmac_f32_e32 v27, 0x3f167918, v57
	v_fmac_f32_e32 v22, 0xbf167918, v57
	;; [unrolled: 1-line block ×7, first 2 shown]
	v_fma_f32 v45, -0.5, v53, v4
	v_sub_f32_e32 v23, v72, v99
	v_fmac_f32_e32 v56, 0xbf167918, v5
	v_add_f32_e32 v5, v99, v11
	v_sub_f32_e32 v11, v102, v101
	v_sub_f32_e32 v55, v103, v0
	v_add_f32_e32 v57, v102, v103
	v_fmac_f32_e32 v26, 0x3e9e377a, v60
	v_fmac_f32_e32 v21, 0x3e9e377a, v60
	;; [unrolled: 1-line block ×3, first 2 shown]
	v_fmamk_f32 v53, v23, 0x3f737871, v45
	v_sub_f32_e32 v59, v84, v100
	v_fmac_f32_e32 v56, 0x3e9e377a, v14
	v_add_f32_e32 v14, v11, v55
	v_fma_f32 v55, -0.5, v57, v4
	v_fmac_f32_e32 v45, 0xbf737871, v23
	v_sub_f32_e32 v11, v101, v102
	v_sub_f32_e32 v60, v0, v103
	v_fmac_f32_e32 v53, 0xbf167918, v59
	v_fmamk_f32 v57, v59, 0xbf737871, v55
	v_fmac_f32_e32 v55, 0x3f737871, v59
	v_fmac_f32_e32 v45, 0x3f167918, v59
	v_add_f32_e32 v59, v11, v60
	v_mov_b32_e32 v11, v1
	v_fmac_f32_e32 v53, 0x3e9e377a, v14
	v_fmac_f32_e32 v57, 0xbf167918, v23
	;; [unrolled: 1-line block ×3, first 2 shown]
	v_add_co_u32 v14, vcc_lo, s2, v8
	v_lshlrev_b64 v[10:11], 3, v[10:11]
	v_fmac_f32_e32 v55, 0x3f167918, v23
	v_add_f32_e32 v4, v4, v101
	v_add_co_ci_u32_e32 v23, vcc_lo, s3, v9, vcc_lo
	v_fmamk_f32 v28, v80, 0xbf737871, v12
	v_add_co_u32 v8, vcc_lo, v14, v10
	v_add_f32_e32 v4, v102, v4
	v_add_co_ci_u32_e32 v9, vcc_lo, v23, v11, vcc_lo
	v_fmac_f32_e32 v12, 0x3f737871, v80
	v_add_co_u32 v10, vcc_lo, 0x1000, v8
	v_fmac_f32_e32 v37, 0xbf167918, v64
	v_fmac_f32_e32 v30, 0x3f167918, v64
	v_add_f32_e32 v4, v4, v103
	v_add_co_ci_u32_e32 v11, vcc_lo, 0, v9, vcc_lo
	v_fmac_f32_e32 v28, 0xbf167918, v77
	v_fmac_f32_e32 v12, 0x3f167918, v77
	v_fmac_f32_e32 v57, 0x3e9e377a, v59
	v_fmac_f32_e32 v55, 0x3e9e377a, v59
	v_add_co_u32 v59, vcc_lo, 0x2000, v8
	v_add_co_ci_u32_e32 v60, vcc_lo, 0, v9, vcc_lo
	v_fmac_f32_e32 v37, 0x3e9e377a, v61
	v_fmac_f32_e32 v30, 0x3e9e377a, v61
	v_add_co_u32 v61, vcc_lo, 0x3800, v8
	v_add_f32_e32 v5, v100, v5
	v_add_f32_e32 v4, v4, v0
	v_fmac_f32_e32 v28, 0x3e9e377a, v62
	v_fmac_f32_e32 v12, 0x3e9e377a, v62
	v_add_co_ci_u32_e32 v62, vcc_lo, 0, v9, vcc_lo
	v_add_co_u32 v63, vcc_lo, 0x4800, v8
	v_add_co_ci_u32_e32 v64, vcc_lo, 0, v9, vcc_lo
	global_store_dwordx2 v[8:9], v[4:5], off
	global_store_dwordx2 v[10:11], v[55:56], off offset:904
	global_store_dwordx2 v[59:60], v[45:46], off offset:1808
	;; [unrolled: 1-line block ×4, first 2 shown]
	v_add_co_u32 v4, vcc_lo, 0x2800, v8
	v_add_f32_e32 v6, v6, v71
	v_mul_hi_u32 v0, 0xd1b71759, v36
	v_add_co_ci_u32_e32 v5, vcc_lo, 0, v9, vcc_lo
	v_add_co_u32 v45, vcc_lo, 0x5000, v8
	v_add_co_ci_u32_e32 v46, vcc_lo, 0, v9, vcc_lo
	global_store_dwordx2 v[8:9], v[6:7], off offset:1000
	global_store_dwordx2 v[10:11], v[43:44], off offset:1904
	;; [unrolled: 1-line block ×5, first 2 shown]
	v_add_co_u32 v6, vcc_lo, 0x1800, v8
	v_add_co_ci_u32_e32 v7, vcc_lo, 0, v9, vcc_lo
	v_fmac_f32_e32 v32, 0x3e9e377a, v66
	v_add_co_u32 v10, vcc_lo, 0x4000, v8
	v_lshrrev_b32_e32 v0, 9, v0
	v_add_co_ci_u32_e32 v11, vcc_lo, 0, v9, vcc_lo
	global_store_dwordx2 v[8:9], v[47:48], off offset:2000
	global_store_dwordx2 v[6:7], v[32:33], off offset:856
	;; [unrolled: 1-line block ×4, first 2 shown]
	v_add_co_u32 v4, vcc_lo, 0x800, v8
	v_mad_u32_u24 v0, 0x9c4, v0, v36
	v_add_co_ci_u32_e32 v5, vcc_lo, 0, v9, vcc_lo
	v_fmac_f32_e32 v39, 0x3e9e377a, v66
	v_add_co_u32 v30, vcc_lo, 0x3000, v8
	v_fmac_f32_e32 v22, 0x3e9e377a, v88
	v_add_co_ci_u32_e32 v31, vcc_lo, 0, v9, vcc_lo
	v_lshlrev_b64 v[0:1], 3, v[0:1]
	v_fmac_f32_e32 v27, 0x3e9e377a, v88
	global_store_dwordx2 v[45:46], v[39:40], off offset:1520
	global_store_dwordx2 v[4:5], v[34:35], off offset:952
	;; [unrolled: 1-line block ×5, first 2 shown]
	v_add_co_u32 v4, vcc_lo, 0x5800, v8
	v_add_co_ci_u32_e32 v5, vcc_lo, 0, v9, vcc_lo
	v_add_co_u32 v0, vcc_lo, v14, v0
	v_add_co_ci_u32_e32 v1, vcc_lo, v23, v1, vcc_lo
	global_store_dwordx2 v[4:5], v[28:29], off offset:472
	v_add_co_u32 v4, vcc_lo, 0x1000, v0
	v_add_co_ci_u32_e32 v5, vcc_lo, 0, v1, vcc_lo
	v_add_co_u32 v6, vcc_lo, 0x2000, v0
	v_add_co_ci_u32_e32 v7, vcc_lo, 0, v1, vcc_lo
	;; [unrolled: 2-line block ×4, first 2 shown]
	global_store_dwordx2 v[0:1], v[17:18], off
	global_store_dwordx2 v[4:5], v[24:25], off offset:904
	global_store_dwordx2 v[6:7], v[2:3], off offset:1808
	;; [unrolled: 1-line block ×4, first 2 shown]
.LBB0_13:
	s_endpgm
	.section	.rodata,"a",@progbits
	.p2align	6, 0x0
	.amdhsa_kernel fft_rtc_fwd_len3125_factors_5_5_5_5_5_wgs_125_tpt_125_halfLds_sp_ip_CI_unitstride_sbrr_dirReg
		.amdhsa_group_segment_fixed_size 0
		.amdhsa_private_segment_fixed_size 0
		.amdhsa_kernarg_size 88
		.amdhsa_user_sgpr_count 6
		.amdhsa_user_sgpr_private_segment_buffer 1
		.amdhsa_user_sgpr_dispatch_ptr 0
		.amdhsa_user_sgpr_queue_ptr 0
		.amdhsa_user_sgpr_kernarg_segment_ptr 1
		.amdhsa_user_sgpr_dispatch_id 0
		.amdhsa_user_sgpr_flat_scratch_init 0
		.amdhsa_user_sgpr_private_segment_size 0
		.amdhsa_wavefront_size32 1
		.amdhsa_uses_dynamic_stack 0
		.amdhsa_system_sgpr_private_segment_wavefront_offset 0
		.amdhsa_system_sgpr_workgroup_id_x 1
		.amdhsa_system_sgpr_workgroup_id_y 0
		.amdhsa_system_sgpr_workgroup_id_z 0
		.amdhsa_system_sgpr_workgroup_info 0
		.amdhsa_system_vgpr_workitem_id 0
		.amdhsa_next_free_vgpr 117
		.amdhsa_next_free_sgpr 21
		.amdhsa_reserve_vcc 1
		.amdhsa_reserve_flat_scratch 0
		.amdhsa_float_round_mode_32 0
		.amdhsa_float_round_mode_16_64 0
		.amdhsa_float_denorm_mode_32 3
		.amdhsa_float_denorm_mode_16_64 3
		.amdhsa_dx10_clamp 1
		.amdhsa_ieee_mode 1
		.amdhsa_fp16_overflow 0
		.amdhsa_workgroup_processor_mode 1
		.amdhsa_memory_ordered 1
		.amdhsa_forward_progress 0
		.amdhsa_shared_vgpr_count 0
		.amdhsa_exception_fp_ieee_invalid_op 0
		.amdhsa_exception_fp_denorm_src 0
		.amdhsa_exception_fp_ieee_div_zero 0
		.amdhsa_exception_fp_ieee_overflow 0
		.amdhsa_exception_fp_ieee_underflow 0
		.amdhsa_exception_fp_ieee_inexact 0
		.amdhsa_exception_int_div_zero 0
	.end_amdhsa_kernel
	.text
.Lfunc_end0:
	.size	fft_rtc_fwd_len3125_factors_5_5_5_5_5_wgs_125_tpt_125_halfLds_sp_ip_CI_unitstride_sbrr_dirReg, .Lfunc_end0-fft_rtc_fwd_len3125_factors_5_5_5_5_5_wgs_125_tpt_125_halfLds_sp_ip_CI_unitstride_sbrr_dirReg
                                        ; -- End function
	.section	.AMDGPU.csdata,"",@progbits
; Kernel info:
; codeLenInByte = 16252
; NumSgprs: 23
; NumVgprs: 117
; ScratchSize: 0
; MemoryBound: 0
; FloatMode: 240
; IeeeMode: 1
; LDSByteSize: 0 bytes/workgroup (compile time only)
; SGPRBlocks: 2
; VGPRBlocks: 14
; NumSGPRsForWavesPerEU: 23
; NumVGPRsForWavesPerEU: 117
; Occupancy: 8
; WaveLimiterHint : 1
; COMPUTE_PGM_RSRC2:SCRATCH_EN: 0
; COMPUTE_PGM_RSRC2:USER_SGPR: 6
; COMPUTE_PGM_RSRC2:TRAP_HANDLER: 0
; COMPUTE_PGM_RSRC2:TGID_X_EN: 1
; COMPUTE_PGM_RSRC2:TGID_Y_EN: 0
; COMPUTE_PGM_RSRC2:TGID_Z_EN: 0
; COMPUTE_PGM_RSRC2:TIDIG_COMP_CNT: 0
	.text
	.p2alignl 6, 3214868480
	.fill 48, 4, 3214868480
	.type	__hip_cuid_421eca1dbc9d1d10,@object ; @__hip_cuid_421eca1dbc9d1d10
	.section	.bss,"aw",@nobits
	.globl	__hip_cuid_421eca1dbc9d1d10
__hip_cuid_421eca1dbc9d1d10:
	.byte	0                               ; 0x0
	.size	__hip_cuid_421eca1dbc9d1d10, 1

	.ident	"AMD clang version 19.0.0git (https://github.com/RadeonOpenCompute/llvm-project roc-6.4.0 25133 c7fe45cf4b819c5991fe208aaa96edf142730f1d)"
	.section	".note.GNU-stack","",@progbits
	.addrsig
	.addrsig_sym __hip_cuid_421eca1dbc9d1d10
	.amdgpu_metadata
---
amdhsa.kernels:
  - .args:
      - .actual_access:  read_only
        .address_space:  global
        .offset:         0
        .size:           8
        .value_kind:     global_buffer
      - .offset:         8
        .size:           8
        .value_kind:     by_value
      - .actual_access:  read_only
        .address_space:  global
        .offset:         16
        .size:           8
        .value_kind:     global_buffer
      - .actual_access:  read_only
        .address_space:  global
        .offset:         24
        .size:           8
        .value_kind:     global_buffer
      - .offset:         32
        .size:           8
        .value_kind:     by_value
      - .actual_access:  read_only
        .address_space:  global
        .offset:         40
        .size:           8
        .value_kind:     global_buffer
      - .actual_access:  read_only
        .address_space:  global
        .offset:         48
        .size:           8
        .value_kind:     global_buffer
      - .offset:         56
        .size:           4
        .value_kind:     by_value
      - .actual_access:  read_only
        .address_space:  global
        .offset:         64
        .size:           8
        .value_kind:     global_buffer
      - .actual_access:  read_only
        .address_space:  global
        .offset:         72
        .size:           8
        .value_kind:     global_buffer
      - .address_space:  global
        .offset:         80
        .size:           8
        .value_kind:     global_buffer
    .group_segment_fixed_size: 0
    .kernarg_segment_align: 8
    .kernarg_segment_size: 88
    .language:       OpenCL C
    .language_version:
      - 2
      - 0
    .max_flat_workgroup_size: 125
    .name:           fft_rtc_fwd_len3125_factors_5_5_5_5_5_wgs_125_tpt_125_halfLds_sp_ip_CI_unitstride_sbrr_dirReg
    .private_segment_fixed_size: 0
    .sgpr_count:     23
    .sgpr_spill_count: 0
    .symbol:         fft_rtc_fwd_len3125_factors_5_5_5_5_5_wgs_125_tpt_125_halfLds_sp_ip_CI_unitstride_sbrr_dirReg.kd
    .uniform_work_group_size: 1
    .uses_dynamic_stack: false
    .vgpr_count:     117
    .vgpr_spill_count: 0
    .wavefront_size: 32
    .workgroup_processor_mode: 1
amdhsa.target:   amdgcn-amd-amdhsa--gfx1030
amdhsa.version:
  - 1
  - 2
...

	.end_amdgpu_metadata
